;; amdgpu-corpus repo=ROCm/rocFFT kind=compiled arch=gfx1030 opt=O3
	.text
	.amdgcn_target "amdgcn-amd-amdhsa--gfx1030"
	.amdhsa_code_object_version 6
	.protected	bluestein_single_fwd_len1377_dim1_half_op_CI_CI ; -- Begin function bluestein_single_fwd_len1377_dim1_half_op_CI_CI
	.globl	bluestein_single_fwd_len1377_dim1_half_op_CI_CI
	.p2align	8
	.type	bluestein_single_fwd_len1377_dim1_half_op_CI_CI,@function
bluestein_single_fwd_len1377_dim1_half_op_CI_CI: ; @bluestein_single_fwd_len1377_dim1_half_op_CI_CI
; %bb.0:
	s_load_dwordx4 s[12:15], s[4:5], 0x28
	v_mul_u32_u24_e32 v1, 0x506, v0
	v_mov_b32_e32 v23, 0
	s_mov_b32 s0, exec_lo
	v_lshrrev_b32_e32 v1, 16, v1
	v_add_nc_u32_e32 v22, s6, v1
	s_waitcnt lgkmcnt(0)
	v_cmpx_gt_u64_e64 s[12:13], v[22:23]
	s_cbranch_execz .LBB0_15
; %bb.1:
	s_load_dwordx4 s[8:11], s[4:5], 0x18
	v_mul_lo_u16 v1, v1, 51
	v_sub_nc_u16 v8, v0, v1
	v_and_b32_e32 v109, 0xffff, v8
	v_lshlrev_b32_e32 v93, 2, v109
	s_waitcnt lgkmcnt(0)
	s_load_dwordx4 s[0:3], s[8:9], 0x0
	s_waitcnt lgkmcnt(0)
	v_mad_u64_u32 v[0:1], null, s2, v22, 0
	v_mad_u64_u32 v[2:3], null, s0, v109, 0
	s_mul_i32 s7, s1, 0x51
	s_mul_hi_u32 s8, s0, 0x51
	s_mul_i32 s6, s0, 0x51
	s_add_i32 s7, s8, s7
	s_lshl_b64 s[12:13], s[6:7], 2
	v_mad_u64_u32 v[4:5], null, s3, v22, v[1:2]
	s_load_dwordx2 s[2:3], s[4:5], 0x0
	v_mad_u64_u32 v[5:6], null, s1, v109, v[3:4]
	v_mov_b32_e32 v1, v4
	v_add_nc_u32_e32 v4, 0x800, v93
	v_lshlrev_b64 v[0:1], 2, v[0:1]
	v_mov_b32_e32 v3, v5
	v_add_nc_u32_e32 v5, 0xc00, v93
	v_add_co_u32 v0, vcc_lo, s14, v0
	v_lshlrev_b64 v[2:3], 2, v[2:3]
	v_add_co_ci_u32_e32 v1, vcc_lo, s15, v1, vcc_lo
	s_waitcnt lgkmcnt(0)
	v_add_co_u32 v20, s8, s2, v93
	v_add_co_ci_u32_e64 v21, null, s3, 0, s8
	v_add_co_u32 v0, vcc_lo, v0, v2
	v_add_co_ci_u32_e32 v1, vcc_lo, v1, v3, vcc_lo
	global_load_dword v6, v[0:1], off
	v_add_co_u32 v0, vcc_lo, v0, s12
	v_add_co_ci_u32_e32 v1, vcc_lo, s13, v1, vcc_lo
	s_clause 0x6
	global_load_dword v111, v93, s[2:3]
	global_load_dword v110, v93, s[2:3] offset:324
	global_load_dword v108, v93, s[2:3] offset:648
	global_load_dword v107, v93, s[2:3] offset:972
	global_load_dword v106, v93, s[2:3] offset:1296
	global_load_dword v105, v93, s[2:3] offset:1620
	global_load_dword v104, v93, s[2:3] offset:1944
	v_add_co_u32 v2, vcc_lo, v0, s12
	v_add_co_ci_u32_e32 v3, vcc_lo, s13, v1, vcc_lo
	s_clause 0x1
	global_load_dword v7, v[0:1], off
	global_load_dword v9, v[2:3], off
	v_add_co_u32 v0, vcc_lo, v2, s12
	v_add_co_ci_u32_e32 v1, vcc_lo, s13, v3, vcc_lo
	v_add_co_u32 v2, vcc_lo, v0, s12
	v_add_co_ci_u32_e32 v3, vcc_lo, s13, v1, vcc_lo
	global_load_dword v10, v[0:1], off
	v_add_co_u32 v0, vcc_lo, v2, s12
	v_add_co_ci_u32_e32 v1, vcc_lo, s13, v3, vcc_lo
	v_add_co_u32 v18, vcc_lo, 0x800, v20
	v_add_co_ci_u32_e32 v19, vcc_lo, 0, v21, vcc_lo
	global_load_dword v11, v[2:3], off
	global_load_dword v12, v[0:1], off
	v_add_co_u32 v0, vcc_lo, v0, s12
	v_add_co_ci_u32_e32 v1, vcc_lo, s13, v1, vcc_lo
	s_clause 0x2
	global_load_dword v103, v[18:19], off offset:220
	global_load_dword v102, v[18:19], off offset:544
	;; [unrolled: 1-line block ×3, first 2 shown]
	v_add_co_u32 v2, vcc_lo, v0, s12
	v_add_co_ci_u32_e32 v3, vcc_lo, s13, v1, vcc_lo
	global_load_dword v13, v[0:1], off
	v_add_co_u32 v0, vcc_lo, v2, s12
	v_add_co_ci_u32_e32 v1, vcc_lo, s13, v3, vcc_lo
	global_load_dword v14, v[2:3], off
	;; [unrolled: 3-line block ×4, first 2 shown]
	v_add_co_u32 v2, vcc_lo, v0, s12
	v_add_co_ci_u32_e32 v3, vcc_lo, s13, v1, vcc_lo
	v_add_co_u32 v16, vcc_lo, 0x1000, v20
	global_load_dword v100, v[18:19], off offset:1192
	global_load_dword v24, v[0:1], off
	global_load_dword v25, v[2:3], off
	v_add_co_ci_u32_e32 v17, vcc_lo, 0, v21, vcc_lo
	v_add_co_u32 v0, vcc_lo, v2, s12
	v_add_co_ci_u32_e32 v1, vcc_lo, s13, v3, vcc_lo
	s_clause 0x2
	global_load_dword v99, v[18:19], off offset:1516
	global_load_dword v98, v[18:19], off offset:1840
	;; [unrolled: 1-line block ×3, first 2 shown]
	v_add_co_u32 v2, vcc_lo, v0, s12
	v_add_co_ci_u32_e32 v3, vcc_lo, s13, v1, vcc_lo
	global_load_dword v26, v[0:1], off
	v_add_co_u32 v0, vcc_lo, v2, s12
	v_add_co_ci_u32_e32 v1, vcc_lo, s13, v3, vcc_lo
	global_load_dword v27, v[2:3], off
	;; [unrolled: 3-line block ×3, first 2 shown]
	v_add_co_u32 v0, vcc_lo, v2, s12
	v_add_co_ci_u32_e32 v1, vcc_lo, s13, v3, vcc_lo
	global_load_dword v96, v[16:17], off offset:440
	global_load_dword v29, v[2:3], off
	global_load_dword v30, v[0:1], off
	s_clause 0x1
	global_load_dword v95, v[16:17], off offset:764
	global_load_dword v94, v[16:17], off offset:1088
	s_load_dwordx2 s[6:7], s[4:5], 0x38
	s_load_dwordx4 s[8:11], s[10:11], 0x0
	v_add_nc_u32_e32 v2, 0x400, v93
	v_add_nc_u32_e32 v3, 0x600, v93
	v_cmp_gt_u16_e32 vcc_lo, 30, v8
	s_waitcnt vmcnt(33)
	v_lshrrev_b32_e32 v31, 16, v6
	s_waitcnt vmcnt(32)
	v_mul_f16_sdwa v32, v111, v6 dst_sel:DWORD dst_unused:UNUSED_PAD src0_sel:WORD_1 src1_sel:DWORD
	v_mul_f16_sdwa v33, v111, v31 dst_sel:DWORD dst_unused:UNUSED_PAD src0_sel:WORD_1 src1_sel:DWORD
	v_fma_f16 v31, v111, v31, -v32
	s_waitcnt vmcnt(25)
	v_lshrrev_b32_e32 v34, 16, v7
	v_mul_f16_sdwa v35, v110, v7 dst_sel:DWORD dst_unused:UNUSED_PAD src0_sel:WORD_1 src1_sel:DWORD
	v_fmac_f16_e32 v33, v111, v6
	s_waitcnt vmcnt(24)
	v_lshrrev_b32_e32 v32, 16, v9
	v_mul_f16_sdwa v6, v110, v34 dst_sel:DWORD dst_unused:UNUSED_PAD src0_sel:WORD_1 src1_sel:DWORD
	v_fma_f16 v34, v110, v34, -v35
	v_mul_f16_sdwa v35, v108, v9 dst_sel:DWORD dst_unused:UNUSED_PAD src0_sel:WORD_1 src1_sel:DWORD
	v_pack_b32_f16 v31, v33, v31
	v_fmac_f16_e32 v6, v110, v7
	v_mul_f16_sdwa v7, v108, v32 dst_sel:DWORD dst_unused:UNUSED_PAD src0_sel:WORD_1 src1_sel:DWORD
	v_fma_f16 v32, v108, v32, -v35
	s_waitcnt vmcnt(23)
	v_lshrrev_b32_e32 v33, 16, v10
	v_mul_f16_sdwa v36, v107, v10 dst_sel:DWORD dst_unused:UNUSED_PAD src0_sel:WORD_1 src1_sel:DWORD
	v_pack_b32_f16 v6, v6, v34
	v_fmac_f16_e32 v7, v108, v9
	v_mul_f16_sdwa v9, v107, v33 dst_sel:DWORD dst_unused:UNUSED_PAD src0_sel:WORD_1 src1_sel:DWORD
	v_fma_f16 v33, v107, v33, -v36
	ds_write2_b32 v93, v31, v6 offset1:81
	s_waitcnt vmcnt(22)
	v_lshrrev_b32_e32 v34, 16, v11
	v_mul_f16_sdwa v35, v106, v11 dst_sel:DWORD dst_unused:UNUSED_PAD src0_sel:WORD_1 src1_sel:DWORD
	v_pack_b32_f16 v6, v7, v32
	v_fmac_f16_e32 v9, v107, v10
	s_waitcnt vmcnt(21)
	v_lshrrev_b32_e32 v10, 16, v12
	v_mul_f16_sdwa v7, v106, v34 dst_sel:DWORD dst_unused:UNUSED_PAD src0_sel:WORD_1 src1_sel:DWORD
	v_mul_f16_sdwa v31, v105, v12 dst_sel:DWORD dst_unused:UNUSED_PAD src0_sel:WORD_1 src1_sel:DWORD
	v_fma_f16 v32, v106, v34, -v35
	v_pack_b32_f16 v9, v9, v33
	v_fmac_f16_e32 v7, v106, v11
	v_mul_f16_sdwa v11, v105, v10 dst_sel:DWORD dst_unused:UNUSED_PAD src0_sel:WORD_1 src1_sel:DWORD
	v_fma_f16 v10, v105, v10, -v31
	s_waitcnt vmcnt(17)
	v_lshrrev_b32_e32 v31, 16, v13
	v_mul_f16_sdwa v33, v104, v13 dst_sel:DWORD dst_unused:UNUSED_PAD src0_sel:WORD_1 src1_sel:DWORD
	ds_write2_b32 v93, v6, v9 offset0:162 offset1:243
	v_pack_b32_f16 v6, v7, v32
	v_fmac_f16_e32 v11, v105, v12
	v_mul_f16_sdwa v7, v104, v31 dst_sel:DWORD dst_unused:UNUSED_PAD src0_sel:WORD_1 src1_sel:DWORD
	s_waitcnt vmcnt(16)
	v_lshrrev_b32_e32 v9, 16, v14
	v_mul_f16_sdwa v12, v103, v14 dst_sel:DWORD dst_unused:UNUSED_PAD src0_sel:WORD_1 src1_sel:DWORD
	v_fma_f16 v31, v104, v31, -v33
	v_pack_b32_f16 v10, v11, v10
	v_fmac_f16_e32 v7, v104, v13
	v_mul_f16_sdwa v11, v103, v9 dst_sel:DWORD dst_unused:UNUSED_PAD src0_sel:WORD_1 src1_sel:DWORD
	v_fma_f16 v9, v103, v9, -v12
	s_waitcnt vmcnt(15)
	v_lshrrev_b32_e32 v12, 16, v15
	v_mul_f16_sdwa v13, v102, v15 dst_sel:DWORD dst_unused:UNUSED_PAD src0_sel:WORD_1 src1_sel:DWORD
	ds_write2_b32 v2, v6, v10 offset0:68 offset1:149
	v_pack_b32_f16 v6, v7, v31
	v_fmac_f16_e32 v11, v103, v14
	v_mul_f16_sdwa v7, v102, v12 dst_sel:DWORD dst_unused:UNUSED_PAD src0_sel:WORD_1 src1_sel:DWORD
	s_waitcnt vmcnt(14)
	v_lshrrev_b32_e32 v10, 16, v23
	v_mul_f16_sdwa v14, v101, v23 dst_sel:DWORD dst_unused:UNUSED_PAD src0_sel:WORD_1 src1_sel:DWORD
	v_fma_f16 v12, v102, v12, -v13
	v_pack_b32_f16 v9, v11, v9
	v_fmac_f16_e32 v7, v102, v15
	v_mul_f16_sdwa v11, v101, v10 dst_sel:DWORD dst_unused:UNUSED_PAD src0_sel:WORD_1 src1_sel:DWORD
	s_waitcnt vmcnt(12)
	v_lshrrev_b32_e32 v13, 16, v24
	v_fma_f16 v10, v101, v10, -v14
	v_mul_f16_sdwa v14, v100, v24 dst_sel:DWORD dst_unused:UNUSED_PAD src0_sel:WORD_1 src1_sel:DWORD
	ds_write2_b32 v3, v6, v9 offset0:102 offset1:183
	v_pack_b32_f16 v6, v7, v12
	v_fmac_f16_e32 v11, v101, v23
	v_mul_f16_sdwa v7, v100, v13 dst_sel:DWORD dst_unused:UNUSED_PAD src0_sel:WORD_1 src1_sel:DWORD
	s_waitcnt vmcnt(11)
	v_lshrrev_b32_e32 v9, 16, v25
	s_waitcnt vmcnt(10)
	v_mul_f16_sdwa v12, v99, v25 dst_sel:DWORD dst_unused:UNUSED_PAD src0_sel:WORD_1 src1_sel:DWORD
	v_fma_f16 v13, v100, v13, -v14
	v_pack_b32_f16 v10, v11, v10
	v_fmac_f16_e32 v7, v100, v24
	v_mul_f16_sdwa v11, v99, v9 dst_sel:DWORD dst_unused:UNUSED_PAD src0_sel:WORD_1 src1_sel:DWORD
	v_fma_f16 v9, v99, v9, -v12
	s_waitcnt vmcnt(7)
	v_lshrrev_b32_e32 v12, 16, v26
	v_mul_f16_sdwa v14, v98, v26 dst_sel:DWORD dst_unused:UNUSED_PAD src0_sel:WORD_1 src1_sel:DWORD
	ds_write2_b32 v4, v6, v10 offset0:136 offset1:217
	v_pack_b32_f16 v10, v7, v13
	v_fmac_f16_e32 v11, v99, v25
	v_mul_f16_sdwa v6, v98, v12 dst_sel:DWORD dst_unused:UNUSED_PAD src0_sel:WORD_1 src1_sel:DWORD
	s_waitcnt vmcnt(6)
	v_lshrrev_b32_e32 v7, 16, v27
	v_fma_f16 v12, v98, v12, -v14
	v_mul_f16_sdwa v13, v97, v27 dst_sel:DWORD dst_unused:UNUSED_PAD src0_sel:WORD_1 src1_sel:DWORD
	v_pack_b32_f16 v9, v11, v9
	v_fmac_f16_e32 v6, v98, v26
	v_mul_f16_sdwa v11, v97, v7 dst_sel:DWORD dst_unused:UNUSED_PAD src0_sel:WORD_1 src1_sel:DWORD
	s_waitcnt vmcnt(5)
	v_lshrrev_b32_e32 v14, 16, v28
	v_fma_f16 v7, v97, v7, -v13
	s_waitcnt vmcnt(4)
	v_mul_f16_sdwa v13, v96, v28 dst_sel:DWORD dst_unused:UNUSED_PAD src0_sel:WORD_1 src1_sel:DWORD
	v_pack_b32_f16 v12, v6, v12
	v_fmac_f16_e32 v11, v97, v27
	s_waitcnt vmcnt(3)
	v_lshrrev_b32_e32 v6, 16, v29
	s_waitcnt vmcnt(2)
	v_lshrrev_b32_e32 v23, 16, v30
	v_mul_f16_sdwa v15, v96, v14 dst_sel:DWORD dst_unused:UNUSED_PAD src0_sel:WORD_1 src1_sel:DWORD
	v_fma_f16 v13, v96, v14, -v13
	s_waitcnt vmcnt(1)
	v_mul_f16_sdwa v14, v95, v29 dst_sel:DWORD dst_unused:UNUSED_PAD src0_sel:WORD_1 src1_sel:DWORD
	v_pack_b32_f16 v11, v11, v7
	v_mul_f16_sdwa v7, v95, v6 dst_sel:DWORD dst_unused:UNUSED_PAD src0_sel:WORD_1 src1_sel:DWORD
	s_waitcnt vmcnt(0)
	v_mul_f16_sdwa v24, v94, v23 dst_sel:DWORD dst_unused:UNUSED_PAD src0_sel:WORD_1 src1_sel:DWORD
	v_mul_f16_sdwa v25, v94, v30 dst_sel:DWORD dst_unused:UNUSED_PAD src0_sel:WORD_1 src1_sel:DWORD
	v_fma_f16 v14, v95, v6, -v14
	v_fmac_f16_e32 v15, v96, v28
	v_fmac_f16_e32 v7, v95, v29
	;; [unrolled: 1-line block ×3, first 2 shown]
	v_fma_f16 v23, v94, v23, -v25
	v_add_nc_u32_e32 v6, 0xe00, v93
	v_pack_b32_f16 v13, v15, v13
	v_pack_b32_f16 v14, v7, v14
	v_add_nc_u32_e32 v7, 0x1000, v93
	v_pack_b32_f16 v15, v24, v23
	ds_write2_b32 v5, v10, v9 offset0:42 offset1:123
	ds_write2_b32 v6, v12, v11 offset0:76 offset1:157
	;; [unrolled: 1-line block ×3, first 2 shown]
	ds_write_b32 v93, v15 offset:5184
	s_and_saveexec_b32 s14, vcc_lo
	s_cbranch_execz .LBB0_3
; %bb.2:
	v_mad_u64_u32 v[0:1], null, 0xffffec8c, s0, v[0:1]
	s_mulk_i32 s1, 0xec8c
	v_add_nc_u32_e32 v48, 0x200, v93
	s_sub_i32 s0, s1, s0
	v_add_nc_u32_e32 v52, 0xa00, v93
	v_add_nc_u32_e32 v1, s0, v1
	v_add_co_u32 v8, s0, v0, s12
	v_add_co_ci_u32_e64 v9, s0, s13, v1, s0
	global_load_dword v12, v[0:1], off
	v_add_co_u32 v0, s0, v8, s12
	v_add_co_ci_u32_e64 v1, s0, s13, v9, s0
	s_clause 0x1
	global_load_dword v13, v[20:21], off offset:204
	global_load_dword v14, v[20:21], off offset:528
	global_load_dword v15, v[8:9], off
	global_load_dword v23, v[0:1], off
	v_add_co_u32 v0, s0, v0, s12
	v_add_co_ci_u32_e64 v1, s0, s13, v1, s0
	s_clause 0x3
	global_load_dword v24, v[20:21], off offset:852
	global_load_dword v25, v[20:21], off offset:1176
	global_load_dword v26, v[20:21], off offset:1500
	global_load_dword v27, v[20:21], off offset:1824
	global_load_dword v28, v[0:1], off
	v_add_co_u32 v0, s0, v0, s12
	v_add_co_ci_u32_e64 v1, s0, s13, v1, s0
	global_load_dword v29, v[18:19], off offset:100
	v_add_co_u32 v8, s0, v0, s12
	v_add_co_ci_u32_e64 v9, s0, s13, v1, s0
	global_load_dword v30, v[0:1], off
	v_add_co_u32 v0, s0, v8, s12
	v_add_co_ci_u32_e64 v1, s0, s13, v9, s0
	global_load_dword v31, v[8:9], off
	v_add_co_u32 v8, s0, v0, s12
	v_add_co_ci_u32_e64 v9, s0, s13, v1, s0
	global_load_dword v32, v[0:1], off
	v_add_co_u32 v0, s0, v8, s12
	v_add_co_ci_u32_e64 v1, s0, s13, v9, s0
	global_load_dword v33, v[8:9], off
	v_add_co_u32 v8, s0, v0, s12
	v_add_co_ci_u32_e64 v9, s0, s13, v1, s0
	s_clause 0x1
	global_load_dword v34, v[18:19], off offset:424
	global_load_dword v35, v[18:19], off offset:748
	global_load_dword v36, v[0:1], off
	global_load_dword v37, v[8:9], off
	v_add_co_u32 v0, s0, v8, s12
	v_add_co_ci_u32_e64 v1, s0, s13, v9, s0
	s_clause 0x4
	global_load_dword v38, v[18:19], off offset:1072
	global_load_dword v39, v[18:19], off offset:1396
	;; [unrolled: 1-line block ×5, first 2 shown]
	v_add_co_u32 v8, s0, v0, s12
	v_add_co_ci_u32_e64 v9, s0, s13, v1, s0
	global_load_dword v43, v[0:1], off
	v_add_co_u32 v0, s0, v8, s12
	v_add_co_ci_u32_e64 v1, s0, s13, v9, s0
	global_load_dword v44, v[8:9], off
	;; [unrolled: 3-line block ×4, first 2 shown]
	v_add_co_u32 v8, s0, v0, s12
	v_add_co_ci_u32_e64 v9, s0, s13, v1, s0
	v_add_co_u32 v10, s0, v8, s12
	v_add_co_ci_u32_e64 v11, s0, s13, v9, s0
	global_load_dword v0, v[0:1], off
	global_load_dword v1, v[16:17], off offset:644
	global_load_dword v8, v[8:9], off
	global_load_dword v9, v[10:11], off
	s_clause 0x1
	global_load_dword v10, v[16:17], off offset:968
	global_load_dword v11, v[16:17], off offset:1292
	s_waitcnt vmcnt(33)
	v_lshrrev_b32_e32 v47, 16, v12
	s_waitcnt vmcnt(32)
	v_mul_f16_sdwa v49, v13, v12 dst_sel:DWORD dst_unused:UNUSED_PAD src0_sel:WORD_1 src1_sel:DWORD
	s_waitcnt vmcnt(30)
	v_lshrrev_b32_e32 v51, 16, v15
	v_mul_f16_sdwa v50, v13, v47 dst_sel:DWORD dst_unused:UNUSED_PAD src0_sel:WORD_1 src1_sel:DWORD
	v_mul_f16_sdwa v53, v14, v15 dst_sel:DWORD dst_unused:UNUSED_PAD src0_sel:WORD_1 src1_sel:DWORD
	v_fma_f16 v47, v13, v47, -v49
	v_fmac_f16_e32 v50, v13, v12
	v_mul_f16_sdwa v12, v14, v51 dst_sel:DWORD dst_unused:UNUSED_PAD src0_sel:WORD_1 src1_sel:DWORD
	s_waitcnt vmcnt(29)
	v_lshrrev_b32_e32 v13, 16, v23
	v_fma_f16 v49, v14, v51, -v53
	s_waitcnt vmcnt(28)
	v_mul_f16_sdwa v51, v24, v23 dst_sel:DWORD dst_unused:UNUSED_PAD src0_sel:WORD_1 src1_sel:DWORD
	v_pack_b32_f16 v47, v50, v47
	v_fmac_f16_e32 v12, v14, v15
	v_mul_f16_sdwa v14, v24, v13 dst_sel:DWORD dst_unused:UNUSED_PAD src0_sel:WORD_1 src1_sel:DWORD
	s_waitcnt vmcnt(24)
	v_lshrrev_b32_e32 v15, 16, v28
	v_mul_f16_sdwa v50, v25, v28 dst_sel:DWORD dst_unused:UNUSED_PAD src0_sel:WORD_1 src1_sel:DWORD
	v_fma_f16 v13, v24, v13, -v51
	v_pack_b32_f16 v12, v12, v49
	v_fmac_f16_e32 v14, v24, v23
	v_mul_f16_sdwa v23, v25, v15 dst_sel:DWORD dst_unused:UNUSED_PAD src0_sel:WORD_1 src1_sel:DWORD
	s_waitcnt vmcnt(22)
	v_lshrrev_b32_e32 v24, 16, v30
	v_fma_f16 v15, v25, v15, -v50
	v_mul_f16_sdwa v49, v26, v30 dst_sel:DWORD dst_unused:UNUSED_PAD src0_sel:WORD_1 src1_sel:DWORD
	ds_write2_b32 v93, v47, v12 offset0:51 offset1:132
	v_pack_b32_f16 v12, v14, v13
	v_fmac_f16_e32 v23, v25, v28
	v_mul_f16_sdwa v13, v26, v24 dst_sel:DWORD dst_unused:UNUSED_PAD src0_sel:WORD_1 src1_sel:DWORD
	s_waitcnt vmcnt(21)
	v_lshrrev_b32_e32 v14, 16, v31
	v_mul_f16_sdwa v25, v27, v31 dst_sel:DWORD dst_unused:UNUSED_PAD src0_sel:WORD_1 src1_sel:DWORD
	v_fma_f16 v24, v26, v24, -v49
	v_pack_b32_f16 v15, v23, v15
	v_fmac_f16_e32 v13, v26, v30
	v_mul_f16_sdwa v23, v27, v14 dst_sel:DWORD dst_unused:UNUSED_PAD src0_sel:WORD_1 src1_sel:DWORD
	v_fma_f16 v14, v27, v14, -v25
	s_waitcnt vmcnt(20)
	v_lshrrev_b32_e32 v25, 16, v32
	v_mul_f16_sdwa v26, v29, v32 dst_sel:DWORD dst_unused:UNUSED_PAD src0_sel:WORD_1 src1_sel:DWORD
	ds_write2_b32 v48, v12, v15 offset0:85 offset1:166
	v_pack_b32_f16 v12, v13, v24
	v_fmac_f16_e32 v23, v27, v31
	v_mul_f16_sdwa v13, v29, v25 dst_sel:DWORD dst_unused:UNUSED_PAD src0_sel:WORD_1 src1_sel:DWORD
	s_waitcnt vmcnt(19)
	v_lshrrev_b32_e32 v15, 16, v33
	s_waitcnt vmcnt(18)
	v_mul_f16_sdwa v24, v34, v33 dst_sel:DWORD dst_unused:UNUSED_PAD src0_sel:WORD_1 src1_sel:DWORD
	v_fma_f16 v25, v29, v25, -v26
	v_pack_b32_f16 v14, v23, v14
	v_fmac_f16_e32 v13, v29, v32
	v_mul_f16_sdwa v23, v34, v15 dst_sel:DWORD dst_unused:UNUSED_PAD src0_sel:WORD_1 src1_sel:DWORD
	v_fma_f16 v15, v34, v15, -v24
	s_waitcnt vmcnt(16)
	v_lshrrev_b32_e32 v24, 16, v36
	v_mul_f16_sdwa v26, v35, v36 dst_sel:DWORD dst_unused:UNUSED_PAD src0_sel:WORD_1 src1_sel:DWORD
	ds_write2_b32 v2, v12, v14 offset0:119 offset1:200
	v_pack_b32_f16 v12, v13, v25
	v_fmac_f16_e32 v23, v34, v33
	v_mul_f16_sdwa v13, v35, v24 dst_sel:DWORD dst_unused:UNUSED_PAD src0_sel:WORD_1 src1_sel:DWORD
	s_waitcnt vmcnt(15)
	v_lshrrev_b32_e32 v14, 16, v37
	s_waitcnt vmcnt(14)
	v_mul_f16_sdwa v25, v38, v37 dst_sel:DWORD dst_unused:UNUSED_PAD src0_sel:WORD_1 src1_sel:DWORD
	v_fma_f16 v24, v35, v24, -v26
	v_pack_b32_f16 v15, v23, v15
	v_fmac_f16_e32 v13, v35, v36
	v_mul_f16_sdwa v23, v38, v14 dst_sel:DWORD dst_unused:UNUSED_PAD src0_sel:WORD_1 src1_sel:DWORD
	v_fma_f16 v14, v38, v14, -v25
	s_waitcnt vmcnt(9)
	v_lshrrev_b32_e32 v25, 16, v43
	v_mul_f16_sdwa v26, v39, v43 dst_sel:DWORD dst_unused:UNUSED_PAD src0_sel:WORD_1 src1_sel:DWORD
	ds_write2_b32 v4, v12, v15 offset0:25 offset1:106
	v_pack_b32_f16 v12, v13, v24
	v_fmac_f16_e32 v23, v38, v37
	v_mul_f16_sdwa v13, v39, v25 dst_sel:DWORD dst_unused:UNUSED_PAD src0_sel:WORD_1 src1_sel:DWORD
	s_waitcnt vmcnt(8)
	v_lshrrev_b32_e32 v15, 16, v44
	v_mul_f16_sdwa v24, v40, v44 dst_sel:DWORD dst_unused:UNUSED_PAD src0_sel:WORD_1 src1_sel:DWORD
	v_fma_f16 v25, v39, v25, -v26
	v_pack_b32_f16 v14, v23, v14
	v_fmac_f16_e32 v13, v39, v43
	v_mul_f16_sdwa v23, v40, v15 dst_sel:DWORD dst_unused:UNUSED_PAD src0_sel:WORD_1 src1_sel:DWORD
	v_fma_f16 v15, v40, v15, -v24
	s_waitcnt vmcnt(7)
	v_lshrrev_b32_e32 v24, 16, v45
	v_mul_f16_sdwa v26, v41, v45 dst_sel:DWORD dst_unused:UNUSED_PAD src0_sel:WORD_1 src1_sel:DWORD
	v_pack_b32_f16 v13, v13, v25
	v_fmac_f16_e32 v23, v40, v44
	s_waitcnt vmcnt(6)
	v_lshrrev_b32_e32 v25, 16, v46
	v_mul_f16_sdwa v28, v42, v46 dst_sel:DWORD dst_unused:UNUSED_PAD src0_sel:WORD_1 src1_sel:DWORD
	v_mul_f16_sdwa v27, v41, v24 dst_sel:DWORD dst_unused:UNUSED_PAD src0_sel:WORD_1 src1_sel:DWORD
	v_fma_f16 v24, v41, v24, -v26
	v_pack_b32_f16 v15, v23, v15
	v_mul_f16_sdwa v23, v42, v25 dst_sel:DWORD dst_unused:UNUSED_PAD src0_sel:WORD_1 src1_sel:DWORD
	v_fma_f16 v25, v42, v25, -v28
	s_waitcnt vmcnt(5)
	v_lshrrev_b32_e32 v26, 16, v0
	s_waitcnt vmcnt(4)
	v_mul_f16_sdwa v28, v1, v0 dst_sel:DWORD dst_unused:UNUSED_PAD src0_sel:WORD_1 src1_sel:DWORD
	s_waitcnt vmcnt(3)
	v_lshrrev_b32_e32 v29, 16, v8
	s_waitcnt vmcnt(2)
	v_lshrrev_b32_e32 v30, 16, v9
	s_waitcnt vmcnt(0)
	v_mul_f16_sdwa v34, v11, v9 dst_sel:DWORD dst_unused:UNUSED_PAD src0_sel:WORD_1 src1_sel:DWORD
	v_mul_f16_sdwa v31, v1, v26 dst_sel:DWORD dst_unused:UNUSED_PAD src0_sel:WORD_1 src1_sel:DWORD
	v_fma_f16 v26, v1, v26, -v28
	v_mul_f16_sdwa v28, v10, v8 dst_sel:DWORD dst_unused:UNUSED_PAD src0_sel:WORD_1 src1_sel:DWORD
	v_mul_f16_sdwa v32, v10, v29 dst_sel:DWORD dst_unused:UNUSED_PAD src0_sel:WORD_1 src1_sel:DWORD
	;; [unrolled: 1-line block ×3, first 2 shown]
	v_fmac_f16_e32 v27, v41, v45
	v_fmac_f16_e32 v23, v42, v46
	;; [unrolled: 1-line block ×3, first 2 shown]
	v_fma_f16 v0, v10, v29, -v28
	v_fmac_f16_e32 v32, v10, v8
	v_fmac_f16_e32 v33, v11, v9
	v_fma_f16 v1, v11, v30, -v34
	v_pack_b32_f16 v8, v27, v24
	v_pack_b32_f16 v9, v23, v25
	;; [unrolled: 1-line block ×5, first 2 shown]
	ds_write2_b32 v52, v12, v14 offset0:59 offset1:140
	ds_write2_b32 v5, v13, v15 offset0:93 offset1:174
	;; [unrolled: 1-line block ×4, first 2 shown]
	ds_write_b32 v93, v1 offset:5388
.LBB0_3:
	s_or_b32 exec_lo, exec_lo, s14
	s_waitcnt lgkmcnt(0)
	s_barrier
	buffer_gl0_inv
	ds_read2_b32 v[27:28], v93 offset1:81
	ds_read2_b32 v[31:32], v93 offset0:162 offset1:243
	ds_read2_b32 v[35:36], v2 offset0:68 offset1:149
	;; [unrolled: 1-line block ×7, first 2 shown]
	ds_read_b32 v124, v93 offset:5184
	s_load_dwordx2 s[0:1], s[4:5], 0x8
	v_mov_b32_e32 v2, 0
                                        ; kill: def $vgpr0 killed $sgpr0 killed $exec
                                        ; implicit-def: $vgpr43
                                        ; implicit-def: $vgpr1
                                        ; implicit-def: $vgpr5
                                        ; implicit-def: $vgpr7
                                        ; implicit-def: $vgpr9
                                        ; implicit-def: $vgpr13
                                        ; implicit-def: $vgpr11
                                        ; implicit-def: $vgpr15
                                        ; implicit-def: $vgpr90
	s_and_saveexec_b32 s4, vcc_lo
	s_cbranch_execz .LBB0_5
; %bb.4:
	v_add_nc_u32_e32 v0, 0x200, v93
	v_add_nc_u32_e32 v1, 0x400, v93
	;; [unrolled: 1-line block ×3, first 2 shown]
	ds_read2_b32 v[2:3], v93 offset0:51 offset1:132
	v_add_nc_u32_e32 v5, 0xe00, v93
	ds_read2_b32 v[14:15], v0 offset0:85 offset1:166
	ds_read2_b32 v[10:11], v1 offset0:119 offset1:200
	v_add_nc_u32_e32 v0, 0xa00, v93
	v_add_nc_u32_e32 v1, 0xc00, v93
	;; [unrolled: 1-line block ×3, first 2 shown]
	ds_read2_b32 v[12:13], v4 offset0:25 offset1:106
	ds_read2_b32 v[8:9], v0 offset0:59 offset1:140
	;; [unrolled: 1-line block ×5, first 2 shown]
	ds_read_b32 v43, v93 offset:5388
	s_waitcnt lgkmcnt(0)
	v_alignbit_b32 v90, v14, v14, 16
.LBB0_5:
	s_or_b32 exec_lo, exec_lo, s4
	v_pk_add_f16 v14, v3, v43 neg_lo:[0,1] neg_hi:[0,1]
	v_mov_b32_e32 v113, 0xbbf7
	v_mov_b32_e32 v115, 0xbbb2
	v_pk_add_f16 v44, v43, v3
	v_pk_add_f16 v45, v1, v90 op_sel:[1,0] op_sel_hi:[0,1]
	v_pk_add_f16 v46, v90, v1 op_sel:[1,0] op_sel_hi:[0,1] neg_lo:[0,1] neg_hi:[0,1]
	v_mul_f16_sdwa v67, v14, v113 dst_sel:DWORD dst_unused:UNUSED_PAD src0_sel:WORD_1 src1_sel:DWORD
	v_mov_b32_e32 v114, 0xb1e1
	v_mul_f16_sdwa v68, v14, v115 dst_sel:DWORD dst_unused:UNUSED_PAD src0_sel:WORD_1 src1_sel:DWORD
	v_lshrrev_b32_e32 v52, 16, v45
	v_mov_b32_e32 v132, 0x3836
	v_fmamk_f16 v23, v44, 0x2de8, v67
	v_mul_f16_sdwa v57, v46, v114 dst_sel:DWORD dst_unused:UNUSED_PAD src0_sel:WORD_1 src1_sel:DWORD
	v_fmamk_f16 v24, v44, 0xb461, v68
	v_mov_b32_e32 v117, 0x3bb2
	v_pk_add_f16 v48, v15, v0 neg_lo:[0,1] neg_hi:[0,1]
	v_add_f16_e32 v23, v23, v2
	v_fmamk_f16 v25, v52, 0xbbdd, v57
	v_mul_f16_sdwa v63, v46, v132 dst_sel:DWORD dst_unused:UNUSED_PAD src0_sel:WORD_1 src1_sel:DWORD
	v_mov_b32_e32 v116, 0x3964
	v_mov_b32_e32 v118, 0xbb29
	v_add_f16_e32 v24, v24, v2
	v_add_f16_e32 v23, v25, v23
	v_pk_add_f16 v47, v0, v15
	v_mul_f16_sdwa v60, v48, v117 dst_sel:DWORD dst_unused:UNUSED_PAD src0_sel:WORD_1 src1_sel:DWORD
	v_pk_add_f16 v50, v10, v5 neg_lo:[0,1] neg_hi:[0,1]
	v_mov_b32_e32 v137, 0x35c8
	v_fmamk_f16 v25, v52, 0xbacd, v63
	v_mul_f16_sdwa v66, v48, v116 dst_sel:DWORD dst_unused:UNUSED_PAD src0_sel:WORD_1 src1_sel:DWORD
	v_fmamk_f16 v26, v47, 0xb461, v60
	v_pk_add_f16 v49, v5, v10
	v_mul_f16_sdwa v64, v50, v137 dst_sel:DWORD dst_unused:UNUSED_PAD src0_sel:WORD_1 src1_sel:DWORD
	v_add_f16_e32 v24, v25, v24
	v_pk_add_f16 v54, v11, v4 neg_lo:[0,1] neg_hi:[0,1]
	v_fmamk_f16 v25, v47, 0x39e9, v66
	v_mul_f16_sdwa v69, v50, v118 dst_sel:DWORD dst_unused:UNUSED_PAD src0_sel:WORD_1 src1_sel:DWORD
	v_mov_b32_e32 v112, 0xb836
	v_add_f16_e32 v23, v26, v23
	v_fmamk_f16 v26, v49, 0x3b76, v64
	v_pk_add_f16 v53, v4, v11
	v_mul_f16_sdwa v65, v54, v118 dst_sel:DWORD dst_unused:UNUSED_PAD src0_sel:WORD_1 src1_sel:DWORD
	v_add_f16_e32 v24, v25, v24
	v_fmamk_f16 v25, v49, 0x3722, v69
	v_pk_add_f16 v56, v12, v7 neg_lo:[0,1] neg_hi:[0,1]
	v_mul_f16_sdwa v71, v54, v114 dst_sel:DWORD dst_unused:UNUSED_PAD src0_sel:WORD_1 src1_sel:DWORD
	v_mov_b32_e32 v134, 0x3bf7
	v_add_f16_e32 v23, v26, v23
	v_fmamk_f16 v26, v53, 0x3722, v65
	v_pk_add_f16 v55, v7, v12
	v_mul_f16_sdwa v70, v56, v112 dst_sel:DWORD dst_unused:UNUSED_PAD src0_sel:WORD_1 src1_sel:DWORD
	v_add_f16_e32 v24, v25, v24
	v_fmamk_f16 v25, v53, 0xbbdd, v71
	v_mul_f16_sdwa v73, v56, v134 dst_sel:DWORD dst_unused:UNUSED_PAD src0_sel:WORD_1 src1_sel:DWORD
	v_mov_b32_e32 v131, 0x3a62
	v_pk_add_f16 v59, v13, v6 neg_lo:[0,1] neg_hi:[0,1]
	v_add_f16_e32 v23, v26, v23
	v_fmamk_f16 v26, v55, 0xbacd, v70
	v_add_f16_e32 v24, v25, v24
	v_fmamk_f16 v25, v55, 0x2de8, v73
	v_pk_add_f16 v58, v6, v13
	v_mul_f16_sdwa v72, v59, v131 dst_sel:DWORD dst_unused:UNUSED_PAD src0_sel:WORD_1 src1_sel:DWORD
	v_mov_b32_e32 v119, 0xb5c8
	v_add_f16_e32 v23, v26, v23
	v_add_f16_e32 v24, v25, v24
	v_pk_add_f16 v62, v8, v9 neg_lo:[0,1] neg_hi:[0,1]
	v_fmamk_f16 v25, v58, 0xb8d2, v72
	v_mul_f16_sdwa v75, v59, v119 dst_sel:DWORD dst_unused:UNUSED_PAD src0_sel:WORD_1 src1_sel:DWORD
	v_pk_add_f16 v61, v9, v8
	v_mov_b32_e32 v123, 0xba62
	v_mul_f16_sdwa v74, v62, v116 dst_sel:DWORD dst_unused:UNUSED_PAD src0_sel:WORD_1 src1_sel:DWORD
	v_add_f16_e32 v23, v25, v23
	v_fmamk_f16 v25, v58, 0x3b76, v75
	v_mul_f16_sdwa v77, v46, v117 dst_sel:DWORD dst_unused:UNUSED_PAD src0_sel:WORD_1 src1_sel:DWORD
	v_mul_f16_sdwa v76, v62, v123 dst_sel:DWORD dst_unused:UNUSED_PAD src0_sel:WORD_1 src1_sel:DWORD
	;; [unrolled: 1-line block ×4, first 2 shown]
	v_add_f16_e32 v25, v25, v24
	v_fmamk_f16 v24, v61, 0x39e9, v74
	v_fmamk_f16 v26, v52, 0xb461, v77
	v_mov_b32_e32 v136, 0x3b29
	v_mul_f16_sdwa v82, v48, v119 dst_sel:DWORD dst_unused:UNUSED_PAD src0_sel:WORD_1 src1_sel:DWORD
	v_mul_f16_sdwa v91, v48, v113 dst_sel:DWORD dst_unused:UNUSED_PAD src0_sel:WORD_1 src1_sel:DWORD
	v_add_f16_e32 v24, v24, v23
	v_fmamk_f16 v23, v61, 0xb8d2, v76
	v_mul_f16_sdwa v84, v46, v136 dst_sel:DWORD dst_unused:UNUSED_PAD src0_sel:WORD_1 src1_sel:DWORD
	v_mul_f16_sdwa v83, v50, v112 dst_sel:DWORD dst_unused:UNUSED_PAD src0_sel:WORD_1 src1_sel:DWORD
	;; [unrolled: 1-line block ×4, first 2 shown]
	v_add_f16_e32 v23, v23, v25
	v_fmamk_f16 v25, v44, 0xb8d2, v92
	v_fmamk_f16 v51, v52, 0x3722, v84
	v_mul_f16_sdwa v89, v54, v119 dst_sel:DWORD dst_unused:UNUSED_PAD src0_sel:WORD_1 src1_sel:DWORD
	v_mov_b32_e32 v125, 0xb964
	v_mul_f16_sdwa v87, v56, v114 dst_sel:DWORD dst_unused:UNUSED_PAD src0_sel:WORD_1 src1_sel:DWORD
	v_add_f16_e32 v25, v25, v2
	v_mul_f16_sdwa v79, v59, v114 dst_sel:DWORD dst_unused:UNUSED_PAD src0_sel:WORD_1 src1_sel:DWORD
	v_mul_f16_sdwa v86, v59, v116 dst_sel:DWORD dst_unused:UNUSED_PAD src0_sel:WORD_1 src1_sel:DWORD
	;; [unrolled: 1-line block ×4, first 2 shown]
	v_add_f16_e32 v25, v26, v25
	v_fmamk_f16 v26, v44, 0xbacd, v122
	v_mul_f16_sdwa v85, v62, v115 dst_sel:DWORD dst_unused:UNUSED_PAD src0_sel:WORD_1 src1_sel:DWORD
	s_waitcnt lgkmcnt(0)
	v_pk_add_f16 v121, v40, v41
	v_pk_add_f16 v135, v41, v40 neg_lo:[0,1] neg_hi:[0,1]
	v_pk_add_f16 v133, v42, v39 neg_lo:[0,1] neg_hi:[0,1]
	v_add_f16_e32 v26, v26, v2
	v_pk_add_f16 v162, v35, v38 neg_lo:[0,1] neg_hi:[0,1]
	v_pk_add_f16 v161, v36, v37 neg_lo:[0,1] neg_hi:[0,1]
	;; [unrolled: 1-line block ×3, first 2 shown]
	v_pk_add_f16 v168, v124, v28
	v_add_f16_e32 v26, v51, v26
	v_fmamk_f16 v51, v47, 0x3b76, v82
	v_pk_add_f16 v164, v31, v34 neg_lo:[0,1] neg_hi:[0,1]
	v_mul_f16_sdwa v166, v165, v119 dst_sel:DWORD dst_unused:UNUSED_PAD src0_sel:WORD_1 src1_sel:DWORD
	v_pk_add_f16 v163, v32, v33 neg_lo:[0,1] neg_hi:[0,1]
	v_lshrrev_b32_e32 v174, 16, v168
	v_add_f16_e32 v25, v51, v25
	v_fmamk_f16 v51, v47, 0x2de8, v91
	v_mul_f16_e32 v176, 0xb964, v165
	v_mul_f16_e32 v140, 0xbbf7, v164
	v_mul_f16_sdwa v128, v163, v118 dst_sel:DWORD dst_unused:UNUSED_PAD src0_sel:WORD_1 src1_sel:DWORD
	v_mul_f16_e32 v144, 0xba62, v163
	v_add_f16_e32 v26, v51, v26
	v_fmamk_f16 v51, v49, 0xbacd, v83
	v_mul_f16_e32 v147, 0xb1e1, v162
	v_mul_f16_e32 v151, 0x3836, v161
	v_pk_mul_f16 v127, 0xb8d2b461, v121
	v_lshrrev_b32_e32 v152, 16, v121
	v_add_f16_e32 v25, v51, v25
	v_fmamk_f16 v51, v49, 0xb8d2, v88
	v_mul_f16_e32 v153, 0x3bb2, v135
	v_pk_fma_f16 v148, 0x3bb2ba62, v135, v127 op_sel:[0,0,1] op_sel_hi:[1,1,0]
	v_mul_f16_e32 v155, 0x3b29, v133
	v_pk_add_f16 v156, v29, v30 neg_lo:[0,1] neg_hi:[0,1]
	v_add_f16_e32 v26, v51, v26
	v_fmamk_f16 v51, v53, 0x2de8, v80
	v_mul_f16_sdwa v188, v165, v118 dst_sel:DWORD dst_unused:UNUSED_PAD src0_sel:WORD_1 src1_sel:DWORD
	v_mul_f16_e32 v159, 0x35c8, v156
	s_barrier
	v_add_f16_e32 v25, v51, v25
	v_fmamk_f16 v51, v53, 0x3b76, v89
	buffer_gl0_inv
	v_mul_f16_e32 v207, 0xbb29, v165
	v_mul_f16_sdwa v203, v165, v113 dst_sel:DWORD dst_unused:UNUSED_PAD src0_sel:WORD_1 src1_sel:DWORD
	v_mul_f16_sdwa v186, v164, v114 dst_sel:DWORD dst_unused:UNUSED_PAD src0_sel:WORD_1 src1_sel:DWORD
	v_add_f16_e32 v26, v51, v26
	v_fmamk_f16 v51, v55, 0x39e9, v81
	v_mul_f16_e32 v211, 0xbbf7, v165
	v_mul_f16_e32 v187, 0xb1e1, v164
	v_mul_f16_sdwa v189, v163, v117 dst_sel:DWORD dst_unused:UNUSED_PAD src0_sel:WORD_1 src1_sel:DWORD
	v_mul_f16_e32 v190, 0x3bb2, v163
	v_add_f16_e32 v25, v51, v25
	v_fmamk_f16 v51, v55, 0xbbdd, v87
	v_mul_f16_sdwa v191, v162, v137 dst_sel:DWORD dst_unused:UNUSED_PAD src0_sel:WORD_1 src1_sel:DWORD
	v_mul_f16_e32 v192, 0x35c8, v162
	v_mul_f16_sdwa v193, v161, v118 dst_sel:DWORD dst_unused:UNUSED_PAD src0_sel:WORD_1 src1_sel:DWORD
	v_mul_f16_e32 v194, 0xbb29, v161
	v_add_f16_e32 v26, v51, v26
	v_fmamk_f16 v51, v58, 0xbbdd, v79
	v_mul_f16_e32 v196, 0xb836, v135
	v_mul_f16_e32 v198, 0x3a62, v133
	v_mul_f16_sdwa v214, v165, v115 dst_sel:DWORD dst_unused:UNUSED_PAD src0_sel:WORD_1 src1_sel:DWORD
	v_mul_f16_e32 v215, 0xbbb2, v165
	v_add_f16_e32 v25, v51, v25
	v_fmamk_f16 v51, v58, 0x39e9, v86
	v_mul_f16_sdwa v216, v165, v123 dst_sel:DWORD dst_unused:UNUSED_PAD src0_sel:WORD_1 src1_sel:DWORD
	v_mul_f16_sdwa v217, v164, v117 dst_sel:DWORD dst_unused:UNUSED_PAD src0_sel:WORD_1 src1_sel:DWORD
	v_mul_f16_e32 v218, 0xba62, v165
	v_mul_f16_e32 v219, 0x3bb2, v164
	v_add_f16_e32 v51, v51, v26
	v_fmamk_f16 v26, v61, 0x3722, v78
	v_mul_f16_sdwa v220, v163, v119 dst_sel:DWORD dst_unused:UNUSED_PAD src0_sel:WORD_1 src1_sel:DWORD
	v_mul_f16_e32 v221, 0xb5c8, v163
	v_mul_f16_sdwa v222, v162, v112 dst_sel:DWORD dst_unused:UNUSED_PAD src0_sel:WORD_1 src1_sel:DWORD
	v_mul_f16_e32 v223, 0xb836, v162
	v_add_f16_e32 v26, v26, v25
	v_fmamk_f16 v25, v61, 0xb461, v85
	v_mul_f16_e32 v227, 0x3bf7, v161
	v_mul_f16_sdwa v229, v135, v125 dst_sel:DWORD dst_unused:UNUSED_PAD src0_sel:WORD_1 src1_sel:DWORD
	v_mul_f16_e32 v230, 0xb964, v135
	v_add_f16_e32 v25, v25, v51
	v_pk_add_f16 v51, v27, v28
	v_fma_f16 v28, v168, 0x3b76, -v166
	v_fmac_f16_e32 v166, 0x3b76, v168
	v_pk_add_f16 v51, v51, v31
	v_pk_add_f16 v51, v51, v32
	;; [unrolled: 1-line block ×7, first 2 shown]
	v_pk_mul_f16 v149, 0xbacd3722, v41
	v_pk_add_f16 v42, v51, v29
	v_pk_add_f16 v42, v42, v30
	;; [unrolled: 1-line block ×8, first 2 shown]
	v_pk_mul_f16 v40, 0x2de8bbdd, v39
	v_lshrrev_b32_e32 v146, 16, v39
	v_lshrrev_b32_e32 v150, 16, v35
	v_pk_add_f16 v38, v36, v38
	v_pk_add_f16 v36, v33, v32
	v_lshrrev_b32_e32 v139, 16, v37
	v_pk_fma_f16 v142, 0xb1e1bbf7, v162, v40 op_sel:[0,0,1] op_sel_hi:[1,1,0]
	v_fma_f16 v137, v39, 0x3b76, -v191
	v_pk_add_f16 v31, v38, v33
	v_lshrrev_b32_e32 v143, 16, v36
	v_fmac_f16_e32 v191, 0x3b76, v39
	v_pk_add_f16 v170, v31, v34
	v_add_f16_e32 v31, v27, v28
	v_mul_f16_sdwa v28, v164, v125 dst_sel:DWORD dst_unused:UNUSED_PAD src0_sel:WORD_1 src1_sel:DWORD
	v_fmamk_f16 v34, v139, 0x2de8, v140
	v_pk_add_f16 v124, v170, v124
	v_fma_f16 v170, v174, 0x3722, -v207
	v_fma_f16 v32, v37, 0x39e9, -v28
	v_fmac_f16_e32 v28, 0x39e9, v37
	v_add_f16_sdwa v170, v27, v170 dst_sel:DWORD dst_unused:UNUSED_PAD src0_sel:WORD_1 src1_sel:DWORD
	v_add_f16_e32 v31, v32, v31
	v_pk_mul_f16 v32, 0x3b7639e9, v168
	v_pk_fma_f16 v167, 0xb964b5c8, v165, v32 op_sel:[0,0,1] op_sel_hi:[1,1,0] neg_lo:[0,1,0] neg_hi:[0,1,0]
	v_pk_fma_f16 v171, 0xb964b5c8, v165, v32 op_sel:[0,0,1] op_sel_hi:[1,1,0]
	v_pk_mul_f16 v32, 0x39e92de8, v37
	v_pk_fma_f16 v42, 0xbbf7b964, v164, v32 op_sel:[0,0,1] op_sel_hi:[1,1,0] neg_lo:[0,1,0] neg_hi:[0,1,0]
	v_pk_fma_f16 v138, 0xbbf7b964, v164, v32 op_sel:[0,0,1] op_sel_hi:[1,1,0]
	v_bfi_b32 v32, 0xffff, v171, v167
	v_bfi_b32 v33, 0xffff, v138, v42
	v_pk_add_f16 v32, v27, v32 op_sel:[1,0] op_sel_hi:[0,1]
	v_pk_add_f16 v32, v33, v32
	v_fmamk_f16 v33, v174, 0x39e9, v176
	v_add_f16_sdwa v33, v27, v33 dst_sel:DWORD dst_unused:UNUSED_PAD src0_sel:WORD_1 src1_sel:DWORD
	v_add_f16_e32 v33, v34, v33
	v_fma_f16 v34, v36, 0x3722, -v128
	v_fmac_f16_e32 v128, 0x3722, v36
	v_add_f16_e32 v34, v34, v31
	v_pk_mul_f16 v31, 0x3722b8d2, v36
	v_pk_fma_f16 v129, 0xba62bb29, v163, v31 op_sel:[0,0,1] op_sel_hi:[1,1,0] neg_lo:[0,1,0] neg_hi:[0,1,0]
	v_pk_fma_f16 v141, 0xba62bb29, v163, v31 op_sel:[0,0,1] op_sel_hi:[1,1,0]
	v_bfi_b32 v31, 0xffff, v141, v129
	v_pk_add_f16 v32, v31, v32
	v_fmamk_f16 v31, v143, 0xb8d2, v144
	v_add_f16_e32 v38, v31, v33
	v_mul_f16_sdwa v31, v162, v113 dst_sel:DWORD dst_unused:UNUSED_PAD src0_sel:WORD_1 src1_sel:DWORD
	v_fma_f16 v33, v39, 0x2de8, -v31
	v_fmac_f16_e32 v31, 0x2de8, v39
	v_add_f16_e32 v34, v33, v34
	v_pk_fma_f16 v33, 0xb1e1bbf7, v162, v40 op_sel:[0,0,1] op_sel_hi:[1,1,0] neg_lo:[0,1,0] neg_hi:[0,1,0]
	v_bfi_b32 v40, 0xffff, v142, v33
	v_pk_add_f16 v40, v40, v32
	v_fmamk_f16 v32, v146, 0xbbdd, v147
	v_add_f16_e32 v51, v32, v38
	v_mul_f16_sdwa v32, v161, v115 dst_sel:DWORD dst_unused:UNUSED_PAD src0_sel:WORD_1 src1_sel:DWORD
	v_fma_f16 v38, v35, 0xb461, -v32
	v_fmac_f16_e32 v32, 0xb461, v35
	v_add_f16_e32 v120, v38, v34
	v_pk_mul_f16 v34, 0xb461bacd, v35
	v_pk_fma_f16 v38, 0x3836bbb2, v161, v34 op_sel:[0,0,1] op_sel_hi:[1,1,0] neg_lo:[0,1,0] neg_hi:[0,1,0]
	v_pk_fma_f16 v145, 0x3836bbb2, v161, v34 op_sel:[0,0,1] op_sel_hi:[1,1,0]
	v_bfi_b32 v34, 0xffff, v145, v38
	v_pk_add_f16 v126, v34, v40
	v_fmamk_f16 v34, v150, 0xbacd, v151
	v_add_f16_e32 v51, v34, v51
	v_mul_f16_sdwa v34, v135, v123 dst_sel:DWORD dst_unused:UNUSED_PAD src0_sel:WORD_1 src1_sel:DWORD
	v_fma_f16 v40, v121, 0xb8d2, -v34
	v_fmac_f16_e32 v34, 0xb8d2, v121
	v_add_f16_e32 v120, v40, v120
	v_pk_fma_f16 v40, 0x3bb2ba62, v135, v127 op_sel:[0,0,1] op_sel_hi:[1,1,0] neg_lo:[0,1,0] neg_hi:[0,1,0]
	v_bfi_b32 v127, 0xffff, v148, v40
	v_pk_add_f16 v130, v127, v126
	v_fmamk_f16 v126, v152, 0xb461, v153
	v_add_f16_e32 v51, v126, v51
	v_mul_f16_sdwa v126, v133, v112 dst_sel:DWORD dst_unused:UNUSED_PAD src0_sel:WORD_1 src1_sel:DWORD
	v_fma_f16 v127, v41, 0xbacd, -v126
	v_fmac_f16_e32 v126, 0xbacd, v41
	v_add_f16_e32 v120, v127, v120
	v_pk_fma_f16 v127, 0x3b29b836, v133, v149 op_sel:[0,0,1] op_sel_hi:[1,1,0] neg_lo:[0,1,0] neg_hi:[0,1,0]
	v_pk_fma_f16 v149, 0x3b29b836, v133, v149 op_sel:[0,0,1] op_sel_hi:[1,1,0]
	v_bfi_b32 v154, 0xffff, v149, v127
	v_pk_add_f16 v157, v154, v130
	v_lshrrev_b32_e32 v154, 16, v41
	v_fmamk_f16 v130, v154, 0x3722, v155
	v_add_f16_e32 v51, v130, v51
	v_pk_add_f16 v130, v30, v29
	v_pk_mul_f16 v160, 0xbbdd3b76, v130
	v_lshrrev_b32_e32 v158, 16, v130
	v_pk_fma_f16 v29, 0x35c8b1e1, v156, v160 op_sel:[0,0,1] op_sel_hi:[1,1,0] neg_lo:[0,1,0] neg_hi:[0,1,0]
	v_pk_fma_f16 v30, 0x35c8b1e1, v156, v160 op_sel:[0,0,1] op_sel_hi:[1,1,0]
	v_bfi_b32 v30, 0xffff, v30, v29
	v_pk_add_f16 v157, v30, v157
	v_fmamk_f16 v30, v158, 0x3b76, v159
	v_add_f16_e32 v51, v30, v51
	v_mul_f16_sdwa v30, v156, v114 dst_sel:DWORD dst_unused:UNUSED_PAD src0_sel:WORD_1 src1_sel:DWORD
	v_fma_f16 v169, v130, 0xbbdd, -v30
	v_fmac_f16_e32 v30, 0xbbdd, v130
	v_add_f16_e32 v120, v169, v120
	v_alignbit_b32 v169, v51, v157, 16
	v_mov_b32_e32 v51, 2
	v_pack_b32_f16 v157, v120, v157
	v_mul_lo_u16 v120, v109, 17
	v_lshlrev_b32_sdwa v120, v51, v120 dst_sel:DWORD dst_unused:UNUSED_PAD src0_sel:DWORD src1_sel:WORD_0
	ds_write2_b32 v120, v157, v169 offset0:1 offset1:2
	v_fma_f16 v157, v168, 0x3722, -v188
	v_mul_f16_sdwa v169, v164, v123 dst_sel:DWORD dst_unused:UNUSED_PAD src0_sel:WORD_1 src1_sel:DWORD
	v_fmac_f16_e32 v188, 0x3722, v168
	v_add_f16_e32 v157, v27, v157
	v_fma_f16 v172, v37, 0xb8d2, -v169
	v_fmac_f16_e32 v169, 0xb8d2, v37
	v_add_f16_e32 v175, v172, v157
	v_fmamk_f16 v157, v174, 0x3722, v207
	v_mul_f16_e32 v172, 0xba62, v164
	v_fma_f16 v207, v174, 0xb461, -v215
	v_add_f16_sdwa v157, v27, v157 dst_sel:DWORD dst_unused:UNUSED_PAD src0_sel:WORD_1 src1_sel:DWORD
	v_fmamk_f16 v173, v139, 0xb8d2, v172
	v_add_f16_sdwa v207, v27, v207 dst_sel:DWORD dst_unused:UNUSED_PAD src0_sel:WORD_1 src1_sel:DWORD
	v_add_f16_e32 v177, v173, v157
	v_fma_f16 v157, v168, 0x2de8, -v203
	v_fma_f16 v173, v37, 0xbbdd, -v186
	v_fmac_f16_e32 v203, 0x2de8, v168
	v_fmac_f16_e32 v186, 0xbbdd, v37
	v_add_f16_e32 v157, v27, v157
	v_add_f16_e32 v203, v27, v203
	;; [unrolled: 1-line block ×3, first 2 shown]
	v_fmamk_f16 v157, v174, 0x2de8, v211
	v_fmamk_f16 v173, v139, 0xbbdd, v187
	v_add_f16_sdwa v157, v27, v157 dst_sel:DWORD dst_unused:UNUSED_PAD src0_sel:WORD_1 src1_sel:DWORD
	v_add_f16_e32 v180, v173, v157
	v_mov_b32_e32 v157, 0x31e1
	v_mul_f16_sdwa v173, v163, v157 dst_sel:DWORD dst_unused:UNUSED_PAD src0_sel:WORD_1 src1_sel:DWORD
	v_fma_f16 v179, v36, 0xbbdd, -v173
	v_fmac_f16_e32 v173, 0xbbdd, v36
	v_add_f16_e32 v181, v179, v175
	v_mul_f16_e32 v179, 0x31e1, v163
	v_fmamk_f16 v175, v143, 0xbbdd, v179
	v_add_f16_e32 v177, v175, v177
	v_fma_f16 v175, v36, 0xb461, -v189
	v_fmac_f16_e32 v189, 0xb461, v36
	v_add_f16_e32 v178, v175, v178
	v_fmamk_f16 v175, v143, 0xb461, v190
	v_add_f16_e32 v137, v137, v178
	v_add_f16_e32 v182, v175, v180
	v_mul_f16_sdwa v175, v162, v117 dst_sel:DWORD dst_unused:UNUSED_PAD src0_sel:WORD_1 src1_sel:DWORD
	v_fma_f16 v180, v39, 0xb461, -v175
	v_fmac_f16_e32 v175, 0xb461, v39
	v_add_f16_e32 v181, v180, v181
	v_mul_f16_e32 v180, 0x3bb2, v162
	v_fmamk_f16 v183, v146, 0xb461, v180
	v_add_f16_e32 v183, v183, v177
	v_fmamk_f16 v177, v146, 0x3b76, v192
	v_add_f16_e32 v178, v177, v182
	v_mul_f16_sdwa v177, v161, v116 dst_sel:DWORD dst_unused:UNUSED_PAD src0_sel:WORD_1 src1_sel:DWORD
	v_fma_f16 v182, v35, 0x39e9, -v177
	v_fmac_f16_e32 v177, 0x39e9, v35
	v_add_f16_e32 v181, v182, v181
	v_mul_f16_e32 v182, 0x3964, v161
	v_fmamk_f16 v184, v150, 0x39e9, v182
	v_add_f16_e32 v184, v184, v183
	v_fma_f16 v183, v35, 0x3722, -v193
	v_fmac_f16_e32 v193, 0x3722, v35
	v_add_f16_e32 v185, v183, v137
	v_fmamk_f16 v137, v150, 0x3722, v194
	v_add_f16_e32 v178, v137, v178
	v_mul_f16_sdwa v137, v135, v119 dst_sel:DWORD dst_unused:UNUSED_PAD src0_sel:WORD_1 src1_sel:DWORD
	v_fma_f16 v183, v121, 0x3b76, -v137
	v_fmac_f16_e32 v137, 0x3b76, v121
	v_add_f16_e32 v181, v183, v181
	v_mul_f16_e32 v183, 0xb5c8, v135
	v_fmamk_f16 v195, v152, 0x3b76, v183
	v_add_f16_e32 v197, v195, v184
	v_mul_f16_sdwa v195, v135, v112 dst_sel:DWORD dst_unused:UNUSED_PAD src0_sel:WORD_1 src1_sel:DWORD
	v_fma_f16 v184, v121, 0xbacd, -v195
	v_fmac_f16_e32 v195, 0xbacd, v121
	v_add_f16_e32 v185, v184, v185
	v_fmamk_f16 v184, v152, 0xbacd, v196
	v_add_f16_e32 v199, v184, v178
	v_mul_f16_sdwa v178, v133, v113 dst_sel:DWORD dst_unused:UNUSED_PAD src0_sel:WORD_1 src1_sel:DWORD
	v_fma_f16 v184, v41, 0x2de8, -v178
	v_fmac_f16_e32 v178, 0x2de8, v41
	v_add_f16_e32 v200, v184, v181
	v_mul_f16_e32 v184, 0xbbf7, v133
	v_fmamk_f16 v181, v154, 0x2de8, v184
	v_add_f16_e32 v201, v181, v197
	v_mul_f16_sdwa v197, v133, v131 dst_sel:DWORD dst_unused:UNUSED_PAD src0_sel:WORD_1 src1_sel:DWORD
	v_mul_f16_sdwa v131, v162, v131 dst_sel:DWORD dst_unused:UNUSED_PAD src0_sel:WORD_1 src1_sel:DWORD
	v_fma_f16 v181, v41, 0xb8d2, -v197
	v_fmac_f16_e32 v197, 0xb8d2, v41
	v_add_f16_e32 v185, v181, v185
	v_fmamk_f16 v181, v154, 0xb8d2, v198
	v_add_f16_e32 v202, v181, v199
	v_mul_f16_sdwa v181, v156, v112 dst_sel:DWORD dst_unused:UNUSED_PAD src0_sel:WORD_1 src1_sel:DWORD
	v_fma_f16 v199, v130, 0xbacd, -v181
	v_fmac_f16_e32 v181, 0xbacd, v130
	v_add_f16_e32 v204, v199, v200
	v_mul_f16_sdwa v199, v156, v116 dst_sel:DWORD dst_unused:UNUSED_PAD src0_sel:WORD_1 src1_sel:DWORD
	v_fma_f16 v200, v130, 0x39e9, -v199
	v_fmac_f16_e32 v199, 0x39e9, v130
	v_add_f16_e32 v205, v200, v185
	v_mul_f16_e32 v200, 0x3964, v156
	v_fmamk_f16 v185, v158, 0x39e9, v200
	v_add_f16_e32 v202, v185, v202
	v_mul_f16_e32 v185, 0xbacd, v158
	v_pack_b32_f16 v202, v205, v202
	v_fmamk_f16 v206, v156, 0xb836, v185
	v_add_f16_e32 v201, v206, v201
	v_pack_b32_f16 v201, v204, v201
	ds_write2_b32 v120, v201, v202 offset0:3 offset1:4
	v_mul_f16_sdwa v201, v164, v132 dst_sel:DWORD dst_unused:UNUSED_PAD src0_sel:WORD_1 src1_sel:DWORD
	v_fma_f16 v132, v168, 0xb461, -v214
	v_fmac_f16_e32 v214, 0xb461, v168
	v_fma_f16 v202, v37, 0xbacd, -v201
	v_add_f16_e32 v132, v27, v132
	v_add_f16_e32 v214, v27, v214
	v_fmac_f16_e32 v201, 0xbacd, v37
	v_add_f16_e32 v132, v202, v132
	v_fmamk_f16 v202, v174, 0xb461, v215
	v_add_f16_sdwa v204, v27, v202 dst_sel:DWORD dst_unused:UNUSED_PAD src0_sel:WORD_1 src1_sel:DWORD
	v_mul_f16_e32 v202, 0x3836, v164
	v_fmamk_f16 v205, v139, 0xbacd, v202
	v_add_f16_e32 v206, v205, v204
	v_fma_f16 v204, v168, 0xb8d2, -v216
	v_fma_f16 v205, v37, 0xb461, -v217
	v_fmac_f16_e32 v216, 0xb8d2, v168
	v_fmac_f16_e32 v217, 0xb461, v37
	v_add_f16_e32 v204, v27, v204
	v_add_f16_e32 v215, v27, v216
	;; [unrolled: 1-line block ×3, first 2 shown]
	v_fmamk_f16 v204, v174, 0xb8d2, v218
	v_fmamk_f16 v205, v139, 0xb461, v219
	v_add_f16_sdwa v204, v27, v204 dst_sel:DWORD dst_unused:UNUSED_PAD src0_sel:WORD_1 src1_sel:DWORD
	v_add_f16_e32 v209, v205, v204
	v_mul_f16_sdwa v204, v163, v116 dst_sel:DWORD dst_unused:UNUSED_PAD src0_sel:WORD_1 src1_sel:DWORD
	v_fma_f16 v205, v36, 0x39e9, -v204
	v_fmac_f16_e32 v204, 0x39e9, v36
	v_add_f16_e32 v132, v205, v132
	v_mul_f16_e32 v205, 0x3964, v163
	v_fmamk_f16 v210, v143, 0x39e9, v205
	v_add_f16_e32 v210, v210, v206
	v_fma_f16 v206, v36, 0x3b76, -v220
	v_fmac_f16_e32 v220, 0x3b76, v36
	v_add_f16_e32 v212, v206, v208
	v_fmamk_f16 v206, v143, 0x3b76, v221
	v_add_f16_e32 v209, v206, v209
	v_mul_f16_sdwa v206, v162, v118 dst_sel:DWORD dst_unused:UNUSED_PAD src0_sel:WORD_1 src1_sel:DWORD
	v_fma_f16 v208, v39, 0x3722, -v206
	v_fmac_f16_e32 v206, 0x3722, v39
	v_add_f16_e32 v132, v208, v132
	v_mul_f16_e32 v208, 0xbb29, v162
	v_fmamk_f16 v213, v146, 0x3722, v208
	v_add_f16_e32 v213, v213, v210
	v_fma_f16 v210, v39, 0xbacd, -v222
	v_fmac_f16_e32 v222, 0xbacd, v39
	v_add_f16_e32 v212, v210, v212
	v_fmamk_f16 v210, v146, 0xbacd, v223
	v_add_f16_e32 v224, v210, v209
	v_mul_f16_sdwa v209, v161, v114 dst_sel:DWORD dst_unused:UNUSED_PAD src0_sel:WORD_1 src1_sel:DWORD
	v_fma_f16 v210, v35, 0xbbdd, -v209
	v_fmac_f16_e32 v209, 0xbbdd, v35
	v_add_f16_e32 v132, v210, v132
	v_mul_f16_e32 v210, 0xb1e1, v161
	v_fmamk_f16 v225, v150, 0xbbdd, v210
	v_add_f16_e32 v213, v225, v213
	v_mul_f16_sdwa v225, v161, v134 dst_sel:DWORD dst_unused:UNUSED_PAD src0_sel:WORD_1 src1_sel:DWORD
	v_mul_f16_sdwa v134, v135, v134 dst_sel:DWORD dst_unused:UNUSED_PAD src0_sel:WORD_1 src1_sel:DWORD
	v_fma_f16 v226, v35, 0x2de8, -v225
	v_fmac_f16_e32 v225, 0x2de8, v35
	v_add_f16_e32 v226, v226, v212
	v_fmamk_f16 v212, v150, 0x2de8, v227
	v_add_f16_e32 v224, v212, v224
	v_fma_f16 v212, v121, 0x2de8, -v134
	v_fmac_f16_e32 v134, 0x2de8, v121
	v_add_f16_e32 v132, v212, v132
	v_mul_f16_e32 v212, 0x3bf7, v135
	v_fmamk_f16 v228, v152, 0x2de8, v212
	v_add_f16_e32 v228, v228, v213
	v_fma_f16 v213, v121, 0x39e9, -v229
	v_fmac_f16_e32 v229, 0x39e9, v121
	v_add_f16_e32 v226, v213, v226
	v_fmamk_f16 v213, v152, 0x39e9, v230
	v_add_f16_e32 v224, v213, v224
	v_mul_f16_sdwa v213, v133, v119 dst_sel:DWORD dst_unused:UNUSED_PAD src0_sel:WORD_1 src1_sel:DWORD
	v_fma_f16 v231, v41, 0x3b76, -v213
	v_fmac_f16_e32 v213, 0x3b76, v41
	v_add_f16_e32 v132, v231, v132
	v_mul_f16_e32 v231, 0xb5c8, v133
	v_fmamk_f16 v232, v154, 0x3b76, v231
	v_add_f16_e32 v228, v232, v228
	v_mul_f16_sdwa v232, v133, v114 dst_sel:DWORD dst_unused:UNUSED_PAD src0_sel:WORD_1 src1_sel:DWORD
	v_fma_f16 v233, v41, 0xbbdd, -v232
	v_fmac_f16_e32 v232, 0xbbdd, v41
	v_add_f16_e32 v226, v233, v226
	v_mul_f16_e32 v233, 0xb1e1, v133
	v_fmamk_f16 v234, v154, 0xbbdd, v233
	v_add_f16_e32 v224, v234, v224
	v_mul_f16_sdwa v234, v156, v123 dst_sel:DWORD dst_unused:UNUSED_PAD src0_sel:WORD_1 src1_sel:DWORD
	v_fma_f16 v235, v130, 0xb8d2, -v234
	v_fmac_f16_e32 v234, 0xb8d2, v130
	v_add_f16_e32 v132, v235, v132
	v_mul_f16_sdwa v235, v156, v136 dst_sel:DWORD dst_unused:UNUSED_PAD src0_sel:WORD_1 src1_sel:DWORD
	v_mul_f16_sdwa v136, v164, v136 dst_sel:DWORD dst_unused:UNUSED_PAD src0_sel:WORD_1 src1_sel:DWORD
	v_fma_f16 v236, v130, 0x3722, -v235
	v_fmac_f16_e32 v235, 0x3722, v130
	v_add_f16_e32 v226, v236, v226
	v_mul_f16_e32 v236, 0x3b29, v156
	v_fmamk_f16 v237, v158, 0x3722, v236
	v_add_f16_e32 v224, v237, v224
	v_mul_f16_e32 v237, 0xba62, v156
	v_pack_b32_f16 v224, v226, v224
	v_fmamk_f16 v238, v158, 0xb8d2, v237
	v_fma_f16 v226, v37, 0x3722, -v136
	v_fmac_f16_e32 v136, 0x3722, v37
	v_add_f16_e32 v228, v238, v228
	v_mul_f16_e32 v238, 0x3b29, v164
	v_pack_b32_f16 v132, v132, v228
	v_fmamk_f16 v239, v139, 0x3722, v238
	ds_write2_b32 v120, v132, v224 offset0:5 offset1:6
	v_mul_f16_sdwa v224, v165, v112 dst_sel:DWORD dst_unused:UNUSED_PAD src0_sel:WORD_1 src1_sel:DWORD
	v_fma_f16 v132, v168, 0xbacd, -v224
	v_fmac_f16_e32 v224, 0xbacd, v168
	v_add_f16_e32 v132, v27, v132
	v_add_f16_e32 v216, v27, v224
	;; [unrolled: 1-line block ×3, first 2 shown]
	v_mul_f16_e32 v226, 0xb836, v165
	v_fmamk_f16 v228, v174, 0xbacd, v226
	v_add_f16_sdwa v228, v27, v228 dst_sel:DWORD dst_unused:UNUSED_PAD src0_sel:WORD_1 src1_sel:DWORD
	v_add_f16_e32 v228, v239, v228
	v_mul_f16_sdwa v239, v163, v113 dst_sel:DWORD dst_unused:UNUSED_PAD src0_sel:WORD_1 src1_sel:DWORD
	v_fma_f16 v240, v36, 0x2de8, -v239
	v_fmac_f16_e32 v239, 0x2de8, v36
	v_add_f16_e32 v132, v240, v132
	v_mul_f16_e32 v240, 0xbbf7, v163
	v_fmamk_f16 v241, v143, 0x2de8, v240
	v_add_f16_e32 v228, v241, v228
	v_fma_f16 v241, v39, 0xb8d2, -v131
	v_fmac_f16_e32 v131, 0xb8d2, v39
	v_add_f16_e32 v132, v241, v132
	v_mul_f16_e32 v241, 0x3a62, v162
	v_fmamk_f16 v242, v146, 0xb8d2, v241
	v_add_f16_e32 v228, v242, v228
	v_mul_f16_sdwa v242, v161, v119 dst_sel:DWORD dst_unused:UNUSED_PAD src0_sel:WORD_1 src1_sel:DWORD
	v_fma_f16 v243, v35, 0x3b76, -v242
	v_fmac_f16_e32 v242, 0x3b76, v35
	v_add_f16_e32 v132, v243, v132
	v_mul_f16_e32 v243, 0xb5c8, v161
	v_fmamk_f16 v244, v150, 0x3b76, v243
	v_add_f16_e32 v228, v244, v228
	v_mul_f16_sdwa v244, v135, v114 dst_sel:DWORD dst_unused:UNUSED_PAD src0_sel:WORD_1 src1_sel:DWORD
	;; [unrolled: 7-line block ×4, first 2 shown]
	v_fma_f16 v249, v130, 0xb461, -v248
	v_fmac_f16_e32 v248, 0xb461, v130
	v_add_f16_e32 v132, v249, v132
	v_mul_f16_e32 v249, 0xbbb2, v156
	v_fmamk_f16 v250, v158, 0xb461, v249
	v_add_f16_e32 v228, v250, v228
	v_pack_b32_f16 v132, v132, v228
	ds_write2_b32 v120, v124, v132 offset1:7
	v_pk_mul_f16 v132, 0xbbdd, v168 op_sel_hi:[0,1]
	v_fma_f16 v124, v174, 0x39e9, -v176
	v_fma_f16 v176, v174, 0x2de8, -v211
	;; [unrolled: 1-line block ×4, first 2 shown]
	v_pk_fma_f16 v168, 0xb1e1, v165, v132 op_sel:[0,0,1] op_sel_hi:[0,1,0] neg_lo:[0,1,0] neg_hi:[0,1,0]
	v_pk_fma_f16 v165, 0xb1e1, v165, v132 op_sel:[0,0,1] op_sel_hi:[0,1,0]
	v_add_f16_e32 v132, v27, v166
	v_pk_add_f16 v166, v27, v171 op_sel:[1,0] op_sel_hi:[0,1]
	v_add_f16_sdwa v124, v27, v124 dst_sel:DWORD dst_unused:UNUSED_PAD src0_sel:WORD_1 src1_sel:DWORD
	v_add_f16_e32 v171, v27, v188
	v_add_f16_sdwa v176, v27, v176 dst_sel:DWORD dst_unused:UNUSED_PAD src0_sel:WORD_1 src1_sel:DWORD
	v_add_f16_sdwa v211, v27, v211 dst_sel:DWORD dst_unused:UNUSED_PAD src0_sel:WORD_1 src1_sel:DWORD
	;; [unrolled: 1-line block ×4, first 2 shown]
	v_pk_add_f16 v167, v27, v168 op_sel:[1,0] op_sel_hi:[0,1]
	v_pk_add_f16 v27, v27, v165 op_sel:[1,0] op_sel_hi:[0,1]
	v_pk_mul_f16 v165, 0x3b76, v37 op_sel_hi:[0,1]
	v_add_f16_e32 v28, v28, v132
	v_pk_fma_f16 v168, 0x35c8, v164, v165 op_sel:[0,0,1] op_sel_hi:[0,1,0] neg_lo:[0,1,0] neg_hi:[0,1,0]
	v_pk_fma_f16 v164, 0x35c8, v164, v165 op_sel:[0,0,1] op_sel_hi:[0,1,0]
	v_pk_add_f16 v165, v168, v167
	v_pk_add_f16 v27, v164, v27
	v_pk_mul_f16 v164, 0xbacd, v36 op_sel_hi:[0,1]
	v_mul_f16_e32 v168, 0xb5c8, v56
	v_mul_f16_sdwa v36, v62, v114 dst_sel:DWORD dst_unused:UNUSED_PAD src0_sel:WORD_1 src1_sel:DWORD
	v_add_f16_e32 v114, v128, v28
	v_pk_fma_f16 v167, 0xb836, v163, v164 op_sel:[0,0,1] op_sel_hi:[0,1,0] neg_lo:[0,1,0] neg_hi:[0,1,0]
	v_pk_fma_f16 v163, 0xb836, v163, v164 op_sel:[0,0,1] op_sel_hi:[0,1,0]
	v_pk_add_f16 v164, v167, v165
	v_pk_add_f16 v27, v163, v27
	v_pk_mul_f16 v163, 0x39e9, v39 op_sel_hi:[0,1]
	v_mul_f16_e32 v167, 0xbb29, v54
	v_pk_fma_f16 v165, 0x3964, v162, v163 op_sel:[0,0,1] op_sel_hi:[0,1,0] neg_lo:[0,1,0] neg_hi:[0,1,0]
	v_pk_fma_f16 v162, 0x3964, v162, v163 op_sel:[0,0,1] op_sel_hi:[0,1,0]
	v_pk_add_f16 v163, v165, v164
	v_pk_add_f16 v27, v162, v27
	v_pk_mul_f16 v162, 0xb8d2, v35 op_sel_hi:[0,1]
	v_pk_fma_f16 v164, 0xba62, v161, v162 op_sel:[0,0,1] op_sel_hi:[0,1,0] neg_lo:[0,1,0] neg_hi:[0,1,0]
	v_pk_fma_f16 v161, 0xba62, v161, v162 op_sel:[0,0,1] op_sel_hi:[0,1,0]
	v_pk_add_f16 v162, v164, v163
	v_pk_add_f16 v27, v161, v27
	v_pk_mul_f16 v161, 0x3722, v121 op_sel_hi:[0,1]
	v_mul_f16_e32 v164, 0xbbf7, v14
	v_pk_fma_f16 v163, 0x3b29, v135, v161 op_sel:[0,0,1] op_sel_hi:[0,1,0] neg_lo:[0,1,0] neg_hi:[0,1,0]
	v_pk_fma_f16 v135, 0x3b29, v135, v161 op_sel:[0,0,1] op_sel_hi:[0,1,0]
	v_pk_add_f16 v161, v163, v162
	v_pk_add_f16 v27, v135, v27
	v_pk_mul_f16 v135, 0xb461, v41 op_sel_hi:[0,1]
	v_pk_fma_f16 v162, 0xbbb2, v133, v135 op_sel:[0,0,1] op_sel_hi:[0,1,0] neg_lo:[0,1,0] neg_hi:[0,1,0]
	v_pk_fma_f16 v133, 0xbbb2, v133, v135 op_sel:[0,0,1] op_sel_hi:[0,1,0]
	v_pk_add_f16 v135, v162, v161
	v_pk_add_f16 v27, v133, v27
	v_pk_mul_f16 v133, 0x2de8, v130 op_sel_hi:[0,1]
	v_mul_f16_e32 v162, 0xbb29, v14
	v_mul_f16_e32 v130, 0xba62, v62
	v_pk_fma_f16 v161, 0x3bf7, v156, v133 op_sel:[0,0,1] op_sel_hi:[0,1,0] neg_lo:[0,1,0] neg_hi:[0,1,0]
	v_pk_fma_f16 v133, 0x3bf7, v156, v133 op_sel:[0,0,1] op_sel_hi:[0,1,0]
	v_pk_add_f16 v135, v161, v135
	v_pk_add_f16 v27, v133, v27
	v_fma_f16 v161, v143, 0x3b76, -v221
	v_alignbit_b32 v133, v135, v27, 16
	v_alignbit_b32 v27, v27, v135, 16
	v_add_f16_e32 v135, v136, v216
	v_fma_f16 v136, v139, 0x3722, -v238
	ds_write2_b32 v120, v27, v133 offset0:8 offset1:9
	v_fma_f16 v133, v139, 0xb461, -v219
	v_add_f16_e32 v136, v136, v174
	v_add_f16_e32 v135, v239, v135
	;; [unrolled: 1-line block ×3, first 2 shown]
	v_mul_f16_e32 v174, 0xba62, v14
	v_add_f16_e32 v133, v133, v211
	v_add_f16_e32 v131, v131, v135
	v_fma_f16 v135, v146, 0xb8d2, -v241
	v_add_f16_e32 v27, v220, v27
	v_add_f16_e32 v133, v161, v133
	v_fma_f16 v161, v143, 0x2de8, -v240
	v_add_f16_e32 v131, v242, v131
	v_add_f16_e32 v27, v222, v27
	v_add_f16_e32 v136, v161, v136
	v_fma_f16 v161, v146, 0xbacd, -v223
	v_add_f16_e32 v131, v244, v131
	v_add_f16_e32 v27, v225, v27
	v_add_f16_e32 v135, v135, v136
	v_add_f16_e32 v133, v161, v133
	v_fma_f16 v136, v150, 0x2de8, -v227
	v_add_f16_e32 v27, v229, v27
	v_add_f16_e32 v131, v246, v131
	v_mul_f16_e32 v161, 0x3964, v48
	v_add_f16_e32 v133, v136, v133
	v_fma_f16 v136, v150, 0x3b76, -v243
	v_add_f16_e32 v27, v232, v27
	v_add_f16_e32 v131, v248, v131
	;; [unrolled: 1-line block ×3, first 2 shown]
	v_fma_f16 v136, v152, 0x39e9, -v230
	v_add_f16_e32 v27, v235, v27
	v_add_f16_e32 v133, v136, v133
	v_fma_f16 v136, v152, 0xbbdd, -v245
	v_add_f16_e32 v135, v136, v135
	v_fma_f16 v136, v154, 0xbbdd, -v233
	;; [unrolled: 2-line block ×5, first 2 shown]
	v_pack_b32_f16 v27, v27, v133
	v_add_f16_e32 v135, v136, v135
	v_fma_f16 v136, v143, 0xb461, -v190
	v_add_f16_e32 v133, v201, v214
	v_mul_f16_e32 v190, 0xb964, v56
	v_pk_mul_f16 v201, 0x3722b8d2, v47
	v_pack_b32_f16 v131, v131, v135
	v_fma_f16 v135, v139, 0xbacd, -v202
	v_add_f16_e32 v133, v204, v133
	v_pk_mul_f16 v202, 0x2de8bbdd, v49
	v_pk_mul_f16 v204, 0xb8d2b461, v55
	ds_write2_b32 v120, v131, v27 offset0:10 offset1:11
	v_fma_f16 v131, v139, 0xbbdd, -v187
	v_add_f16_e32 v135, v135, v207
	v_add_f16_e32 v133, v206, v133
	;; [unrolled: 1-line block ×3, first 2 shown]
	v_mul_f16_e32 v187, 0x3bf7, v54
	v_add_f16_e32 v131, v131, v176
	v_mul_f16_e32 v176, 0xb836, v14
	v_add_f16_e32 v133, v209, v133
	v_add_f16_e32 v27, v189, v27
	v_mul_f16_e32 v189, 0xb5c8, v54
	v_add_f16_e32 v131, v136, v131
	v_fma_f16 v136, v143, 0x39e9, -v205
	v_add_f16_e32 v133, v134, v133
	v_fma_f16 v134, v152, 0x2de8, -v212
	v_add_f16_e32 v27, v191, v27
	v_mul_f16_e32 v186, 0x3bf7, v56
	v_add_f16_e32 v135, v136, v135
	v_fma_f16 v136, v146, 0x3b76, -v192
	v_add_f16_e32 v133, v213, v133
	v_add_f16_e32 v27, v193, v27
	v_mul_f16_e32 v193, 0xb1e1, v56
	v_mul_f16_e32 v191, 0xb5c8, v59
	v_add_f16_e32 v131, v136, v131
	v_fma_f16 v136, v146, 0x3722, -v208
	v_add_f16_e32 v27, v195, v27
	v_add_f16_e32 v133, v234, v133
	v_mul_f16_e32 v195, 0x3964, v59
	v_mul_f16_e32 v192, 0xb1e1, v59
	v_add_f16_e32 v135, v136, v135
	v_fma_f16 v136, v150, 0x3722, -v194
	v_add_f16_e32 v27, v197, v27
	v_pk_fma_f16 v128, 0xb1e1bbf7, v50, v202 op_sel:[0,0,1] op_sel_hi:[1,1,0]
	v_pk_mul_f16 v203, 0xb461bacd, v53
	v_mul_f16_e32 v194, 0x3964, v62
	v_add_f16_e32 v131, v136, v131
	v_fma_f16 v136, v150, 0xbbdd, -v210
	v_add_f16_e32 v27, v199, v27
	v_pk_mul_f16 v199, 0x3b7639e9, v44
	v_pk_fma_f16 v41, 0xb1e1bbf7, v50, v202 op_sel:[0,0,1] op_sel_hi:[1,1,0] neg_lo:[0,1,0] neg_hi:[0,1,0]
	v_pk_mul_f16 v205, 0xbbdd3b76, v61
	v_add_f16_e32 v135, v136, v135
	v_fma_f16 v136, v152, 0xbacd, -v196
	v_mul_f16_e32 v196, 0x3b29, v62
	v_add_f16_e32 v134, v134, v135
	v_add_f16_e32 v131, v136, v131
	v_fma_f16 v135, v154, 0xb8d2, -v198
	v_pk_mul_f16 v136, 0x35c8b1e1, v156
	v_add_f16_e32 v131, v135, v131
	v_fma_f16 v135, v154, 0x3b76, -v231
	v_add_f16_e32 v134, v135, v134
	v_fma_f16 v135, v158, 0x39e9, -v200
	v_pk_mul_f16 v200, 0xbbf7b964, v46
	v_add_f16_e32 v131, v135, v131
	v_fma_f16 v135, v158, 0xb8d2, -v237
	v_pk_fma_f16 v39, 0x2de839e9, v45, v200
	v_pack_b32_f16 v27, v27, v131
	v_add_f16_e32 v134, v135, v134
	v_add_f16_e32 v135, v169, v171
	v_mul_f16_e32 v169, 0x3b29, v46
	v_mul_f16_e32 v171, 0xb5c8, v48
	v_pack_b32_f16 v131, v133, v134
	v_fma_f16 v134, v143, 0xbbdd, -v179
	v_pk_add_f16 v133, v138, v166
	v_add_f16_e32 v135, v173, v135
	v_mul_f16_sdwa v138, v48, v157 dst_sel:DWORD dst_unused:UNUSED_PAD src0_sel:WORD_1 src1_sel:DWORD
	ds_write2_b32 v120, v131, v27 offset0:12 offset1:13
	v_fma_f16 v27, v139, 0x2de8, -v140
	v_fma_f16 v131, v139, 0xb8d2, -v172
	v_pk_add_f16 v133, v141, v133
	v_add_f16_e32 v135, v175, v135
	v_mul_f16_e32 v139, 0xb1e1, v46
	v_add_f16_e32 v27, v27, v124
	v_add_f16_e32 v124, v131, v170
	v_fma_f16 v131, v143, 0xb8d2, -v144
	v_pk_add_f16 v133, v142, v133
	v_add_f16_e32 v135, v177, v135
	v_mul_f16_e32 v170, 0xbbb2, v14
	v_add_f16_e32 v124, v134, v124
	v_fma_f16 v134, v146, 0xb461, -v180
	v_add_f16_e32 v27, v131, v27
	v_fma_f16 v131, v146, 0xbbdd, -v147
	v_pk_add_f16 v133, v145, v133
	v_add_f16_e32 v135, v137, v135
	v_add_f16_e32 v124, v134, v124
	v_fma_f16 v134, v150, 0x39e9, -v182
	v_add_f16_e32 v27, v131, v27
	v_fma_f16 v131, v150, 0xbacd, -v151
	v_pk_add_f16 v133, v148, v133
	v_mul_f16_sdwa v150, v14, v119 dst_sel:DWORD dst_unused:UNUSED_PAD src0_sel:WORD_1 src1_sel:DWORD
	v_add_f16_e32 v124, v134, v124
	v_fma_f16 v134, v152, 0x3b76, -v183
	v_add_f16_e32 v27, v131, v27
	v_fma_f16 v131, v152, 0xb461, -v153
	v_lshrrev_b32_e32 v153, 16, v44
	v_mul_f16_e32 v152, 0xb964, v14
	v_add_f16_e32 v124, v134, v124
	v_fma_f16 v134, v154, 0x3722, -v155
	v_add_f16_e32 v27, v131, v27
	v_fma_f16 v131, v154, 0x2de8, -v184
	v_mul_f16_e32 v142, 0x31e1, v48
	v_bfi_b32 v124, 0xffff, v124, v136
	v_mul_f16_e32 v136, 0xb836, v156
	v_add_f16_e32 v27, v134, v27
	v_pack_b32_f16 v131, v131, v160
	v_fma_f16 v134, v158, 0x3b76, -v159
	v_mul_f16_sdwa v158, v14, v118 dst_sel:DWORD dst_unused:UNUSED_PAD src0_sel:WORD_1 src1_sel:DWORD
	v_bfi_b32 v136, 0xffff, v136, v133
	v_pk_add_f16 v133, v149, v133
	v_pk_add_f16 v124, v131, v124
	v_add_f16_e32 v27, v134, v27
	v_mul_f16_e32 v149, 0x3836, v46
	v_pk_add_f16 v136, v185, v136 neg_lo:[0,1] neg_hi:[0,1]
	v_mul_f16_e32 v160, 0x3bb2, v46
	v_mul_f16_e32 v147, 0x3bb2, v48
	;; [unrolled: 1-line block ×4, first 2 shown]
	v_bfi_b32 v131, 0xffff, v136, v133
	v_add_f16_e32 v133, v178, v135
	v_lshrrev_b32_e32 v136, 16, v47
	v_mul_f16_e32 v178, 0xbbf7, v48
	v_mul_f16_e32 v179, 0xb836, v50
	v_pk_add_f16 v124, v131, v124
	v_add_f16_e32 v131, v181, v133
	v_mul_f16_e32 v185, 0x3a62, v50
	v_mul_f16_e32 v156, 0x3964, v54
	v_mul_f16_e32 v180, 0xb1e1, v54
	v_alignbit_b32 v27, v27, v124, 16
	v_pack_b32_f16 v124, v131, v124
	v_mul_f16_e32 v177, 0xb836, v56
	v_mul_f16_e32 v175, 0xbbf7, v59
	;; [unrolled: 1-line block ×3, first 2 shown]
	v_pk_fma_f16 v183, 0x35c8b1e1, v62, v205 op_sel:[0,0,1] op_sel_hi:[1,1,0]
	ds_write2_b32 v120, v124, v27 offset0:14 offset1:15
	v_mul_f16_sdwa v124, v46, v125 dst_sel:DWORD dst_unused:UNUSED_PAD src0_sel:WORD_1 src1_sel:DWORD
	v_fmamk_f16 v27, v44, 0x3b76, v150
	v_fmamk_f16 v125, v52, 0x39e9, v124
	v_add_f16_e32 v27, v27, v2
	v_add_f16_e32 v27, v125, v27
	v_fma_f16 v125, v153, 0x39e9, -v152
	v_add_f16_sdwa v131, v125, v2 dst_sel:DWORD dst_unused:UNUSED_PAD src0_sel:DWORD src1_sel:WORD_1
	v_mul_f16_e32 v125, 0xbbf7, v46
	v_fma_f16 v133, v45, 0x2de8, -v125
	v_add_f16_e32 v137, v133, v131
	v_fmamk_f16 v131, v44, 0x3722, v158
	v_add_f16_e32 v133, v131, v2
	v_mul_f16_sdwa v131, v46, v123 dst_sel:DWORD dst_unused:UNUSED_PAD src0_sel:WORD_1 src1_sel:DWORD
	v_mul_f16_sdwa v123, v56, v123 dst_sel:DWORD dst_unused:UNUSED_PAD src0_sel:WORD_1 src1_sel:DWORD
	v_fmamk_f16 v134, v52, 0xb8d2, v131
	v_add_f16_e32 v140, v134, v133
	v_fma_f16 v133, v153, 0x3722, -v162
	v_mul_f16_e32 v134, 0xba62, v46
	v_add_f16_sdwa v133, v133, v2 dst_sel:DWORD dst_unused:UNUSED_PAD src0_sel:DWORD src1_sel:WORD_1
	v_fma_f16 v135, v45, 0xb8d2, -v134
	v_add_f16_e32 v141, v135, v133
	v_fma_f16 v133, v153, 0x2de8, -v164
	v_fma_f16 v135, v45, 0xbbdd, -v139
	v_add_f16_sdwa v133, v133, v2 dst_sel:DWORD dst_unused:UNUSED_PAD src0_sel:DWORD src1_sel:WORD_1
	v_add_f16_e32 v143, v135, v133
	v_fma_f16 v133, v153, 0xb461, -v170
	v_fma_f16 v135, v45, 0xbacd, -v149
	v_add_f16_sdwa v133, v133, v2 dst_sel:DWORD dst_unused:UNUSED_PAD src0_sel:DWORD src1_sel:WORD_1
	;; [unrolled: 4-line block ×4, first 2 shown]
	v_add_f16_e32 v146, v135, v133
	v_mul_f16_sdwa v133, v48, v118 dst_sel:DWORD dst_unused:UNUSED_PAD src0_sel:WORD_1 src1_sel:DWORD
	v_mul_f16_e32 v135, 0xba62, v48
	v_fmamk_f16 v118, v47, 0x3722, v133
	v_add_f16_e32 v27, v118, v27
	v_fma_f16 v118, v136, 0xb8d2, -v135
	v_add_f16_e32 v118, v118, v137
	v_fmamk_f16 v137, v47, 0xbbdd, v138
	v_add_f16_e32 v148, v137, v140
	v_fma_f16 v137, v136, 0xbbdd, -v142
	v_add_f16_e32 v151, v137, v141
	v_fma_f16 v137, v136, 0xb461, -v147
	v_lshrrev_b32_e32 v141, 16, v49
	v_add_f16_e32 v143, v137, v143
	v_fma_f16 v137, v136, 0x39e9, -v161
	v_add_f16_e32 v154, v137, v144
	v_fma_f16 v137, v136, 0x3b76, -v171
	;; [unrolled: 2-line block ×3, first 2 shown]
	v_add_f16_e32 v146, v137, v146
	v_mul_f16_sdwa v137, v50, v113 dst_sel:DWORD dst_unused:UNUSED_PAD src0_sel:WORD_1 src1_sel:DWORD
	v_fmamk_f16 v140, v49, 0x2de8, v137
	v_add_f16_e32 v27, v140, v27
	v_mul_f16_e32 v140, 0xb1e1, v50
	v_fma_f16 v144, v141, 0xbbdd, -v140
	v_add_f16_e32 v118, v144, v118
	v_mul_f16_sdwa v144, v50, v117 dst_sel:DWORD dst_unused:UNUSED_PAD src0_sel:WORD_1 src1_sel:DWORD
	v_fmamk_f16 v117, v49, 0xb461, v144
	v_add_f16_e32 v117, v117, v148
	v_mul_f16_e32 v148, 0x3bb2, v50
	v_fma_f16 v155, v141, 0xb461, -v148
	v_add_f16_e32 v155, v155, v151
	v_fma_f16 v151, v141, 0x3b76, -v157
	v_add_f16_e32 v159, v151, v143
	v_fma_f16 v143, v141, 0x3722, -v172
	v_mul_f16_sdwa v151, v54, v116 dst_sel:DWORD dst_unused:UNUSED_PAD src0_sel:WORD_1 src1_sel:DWORD
	v_add_f16_e32 v154, v143, v154
	v_fma_f16 v143, v141, 0xbacd, -v179
	v_fmamk_f16 v116, v53, 0x39e9, v151
	v_add_f16_e32 v163, v143, v145
	v_fma_f16 v143, v141, 0xb8d2, -v185
	v_mul_f16_e32 v145, 0x3836, v54
	v_add_f16_e32 v116, v116, v117
	v_add_f16_e32 v165, v143, v146
	v_mul_f16_sdwa v143, v54, v115 dst_sel:DWORD dst_unused:UNUSED_PAD src0_sel:WORD_1 src1_sel:DWORD
	v_lshrrev_b32_e32 v146, 16, v53
	v_fmamk_f16 v115, v53, 0xb461, v143
	v_fma_f16 v117, v146, 0x39e9, -v156
	v_add_f16_e32 v27, v115, v27
	v_fma_f16 v115, v146, 0xbacd, -v145
	v_add_f16_e32 v117, v117, v155
	;; [unrolled: 2-line block ×4, first 2 shown]
	v_add_f16_e32 v159, v155, v154
	v_fma_f16 v154, v146, 0x2de8, -v187
	v_lshrrev_b32_e32 v155, 16, v55
	v_add_f16_e32 v166, v154, v163
	v_fma_f16 v154, v146, 0x3b76, -v189
	v_add_f16_e32 v165, v154, v165
	v_fmamk_f16 v154, v55, 0xb8d2, v123
	v_add_f16_e32 v27, v154, v27
	v_mul_f16_e32 v154, 0x3bb2, v56
	v_fma_f16 v163, v155, 0xb461, -v154
	v_add_f16_e32 v115, v163, v115
	v_mul_f16_sdwa v163, v56, v119 dst_sel:DWORD dst_unused:UNUSED_PAD src0_sel:WORD_1 src1_sel:DWORD
	v_fmamk_f16 v119, v55, 0x3b76, v163
	v_add_f16_e32 v116, v119, v116
	v_fma_f16 v119, v155, 0x3b76, -v168
	v_add_f16_e32 v117, v119, v117
	v_fma_f16 v119, v155, 0xbacd, -v177
	;; [unrolled: 2-line block ×5, first 2 shown]
	v_lshrrev_b32_e32 v166, 16, v58
	v_add_f16_e32 v182, v159, v165
	v_mul_f16_sdwa v159, v59, v112 dst_sel:DWORD dst_unused:UNUSED_PAD src0_sel:WORD_1 src1_sel:DWORD
	v_fma_f16 v37, v166, 0x39e9, -v195
	v_fmamk_f16 v165, v58, 0xbacd, v159
	v_add_f16_e32 v198, v37, v182
	v_add_f16_e32 v37, v42, v188
	v_fmamk_f16 v42, v61, 0xbbdd, v36
	v_pk_fma_f16 v182, 0x3bb2ba62, v56, v204 op_sel:[0,0,1] op_sel_hi:[1,1,0]
	v_add_f16_e32 v27, v165, v27
	v_mul_f16_e32 v165, 0x3b29, v59
	v_add_f16_e32 v132, v129, v37
	v_pk_fma_f16 v37, 0xb964b5c8, v14, v199 op_sel:[0,0,1] op_sel_hi:[1,1,0]
	v_mul_f16_sdwa v188, v62, v112 dst_sel:DWORD dst_unused:UNUSED_PAD src0_sel:WORD_1 src1_sel:DWORD
	v_pk_mul_f16 v112, 0xbacd3722, v58
	v_fma_f16 v173, v166, 0x3722, -v165
	v_add_f16_e32 v35, v33, v132
	v_lshrrev_b32_e32 v33, 16, v61
	v_add_co_u32 v132, s4, v109, 51
	v_add_f16_e32 v115, v173, v115
	v_mul_f16_sdwa v173, v59, v113 dst_sel:DWORD dst_unused:UNUSED_PAD src0_sel:WORD_1 src1_sel:DWORD
	v_pk_fma_f16 v129, 0x3b29b836, v59, v112 op_sel:[0,0,1] op_sel_hi:[1,1,0]
	v_add_f16_e32 v35, v38, v35
	v_fmamk_f16 v113, v58, 0x2de8, v173
	v_add_f16_e32 v35, v40, v35
	v_pk_fma_f16 v40, 0x2de839e9, v45, v200 neg_lo:[0,0,1] neg_hi:[0,0,1]
	v_add_f16_e32 v116, v113, v116
	v_fma_f16 v113, v166, 0x2de8, -v175
	v_add_f16_e32 v35, v127, v35
	v_pk_fma_f16 v127, 0x3836bbb2, v54, v203 op_sel:[0,0,1] op_sel_hi:[1,1,0] neg_lo:[0,1,0] neg_hi:[0,1,0]
	v_add_f16_e32 v117, v113, v117
	v_fma_f16 v113, v166, 0xb8d2, -v184
	v_add_f16_e32 v29, v29, v35
	v_pk_fma_f16 v35, 0xba62bb29, v48, v201 op_sel:[0,0,1] op_sel_hi:[1,1,0] neg_lo:[0,1,0] neg_hi:[0,1,0]
	v_add_f16_e32 v118, v113, v118
	v_fma_f16 v113, v166, 0x3b76, -v191
	v_add_f16_e32 v119, v113, v119
	v_fma_f16 v113, v166, 0xbbdd, -v192
	v_add_f16_e32 v197, v113, v181
	v_add_f16_e32 v113, v42, v27
	v_add_f16_sdwa v27, v37, v2 dst_sel:DWORD dst_unused:UNUSED_PAD src0_sel:WORD_1 src1_sel:DWORD
	v_pk_fma_f16 v42, 0xba62bb29, v48, v201 op_sel:[0,0,1] op_sel_hi:[1,1,0]
	v_pk_fma_f16 v181, 0x3836bbb2, v54, v203 op_sel:[0,0,1] op_sel_hi:[1,1,0]
	v_add_f16_sdwa v27, v39, v27 dst_sel:DWORD dst_unused:UNUSED_PAD src0_sel:WORD_1 src1_sel:DWORD
	v_add_f16_sdwa v27, v42, v27 dst_sel:DWORD dst_unused:UNUSED_PAD src0_sel:WORD_1 src1_sel:DWORD
	;; [unrolled: 1-line block ×6, first 2 shown]
	v_fmamk_f16 v27, v61, 0xbacd, v188
	v_add_f16_sdwa v28, v183, v28 dst_sel:DWORD dst_unused:UNUSED_PAD src0_sel:WORD_1 src1_sel:DWORD
	v_add_f16_e32 v27, v27, v116
	v_add_f16_e32 v116, v31, v114
	v_mul_f16_e32 v31, 0x35c8, v62
	v_add_f16_e32 v116, v32, v116
	v_mul_f16_e32 v32, 0xb836, v62
	v_fma_f16 v114, v33, 0x3b76, -v31
	v_add_f16_e32 v34, v34, v116
	v_fma_f16 v38, v33, 0xbacd, -v32
	v_add_f16_e32 v114, v114, v115
	v_add_f16_e32 v34, v126, v34
	;; [unrolled: 1-line block ×3, first 2 shown]
	v_fma_f16 v38, v33, 0x39e9, -v194
	v_pk_fma_f16 v126, 0x3bb2ba62, v56, v204 op_sel:[0,0,1] op_sel_hi:[1,1,0] neg_lo:[0,1,0] neg_hi:[0,1,0]
	v_add_f16_e32 v30, v30, v34
	v_fma_f16 v34, v33, 0x3722, -v196
	v_add_f16_e32 v116, v38, v118
	v_fma_f16 v38, v33, 0xb8d2, -v130
	v_pack_b32_f16 v29, v30, v29
	v_add_f16_e32 v118, v34, v197
	v_mul_f16_e32 v197, 0xbbb2, v62
	v_add_f16_e32 v117, v38, v119
	v_pk_fma_f16 v38, 0xb964b5c8, v14, v199 op_sel:[0,0,1] op_sel_hi:[1,1,0] neg_lo:[0,1,0] neg_hi:[0,1,0]
	ds_write_b32 v120, v29 offset:64
	v_pk_fma_f16 v34, 0x35c8b1e1, v62, v205 op_sel:[0,0,1] op_sel_hi:[1,1,0] neg_lo:[0,1,0] neg_hi:[0,1,0]
	v_fma_f16 v30, v33, 0xb461, -v197
	v_add_f16_sdwa v29, v38, v2 dst_sel:DWORD dst_unused:UNUSED_PAD src0_sel:DWORD src1_sel:WORD_1
	v_add_f16_e32 v119, v30, v198
	v_pk_fma_f16 v30, 0x3b29b836, v59, v112 op_sel:[0,0,1] op_sel_hi:[1,1,0] neg_lo:[0,1,0] neg_hi:[0,1,0]
	v_add_f16_e32 v29, v40, v29
	v_add_co_ci_u32_e64 v112, null, 0, 0, s4
	v_mul_u32_u24_e32 v112, 17, v132
	v_add_f16_e32 v29, v35, v29
	v_add_f16_e32 v29, v41, v29
	;; [unrolled: 1-line block ×6, first 2 shown]
	s_and_saveexec_b32 s4, vcc_lo
	s_cbranch_execz .LBB0_7
; %bb.6:
	v_alignbit_b32 v29, v2, v2, 16
	v_alignbit_b32 v90, v90, v90, 16
	v_bfi_b32 v37, 0xffff, v37, v38
	v_mul_f16_e32 v38, 0x3722, v166
	v_bfi_b32 v39, 0xffff, v39, v40
	v_pk_add_f16 v3, v3, v29 op_sel:[0,1] op_sel_hi:[1,0]
	v_bfi_b32 v35, 0xffff, v42, v35
	v_pk_add_f16 v37, v37, v29
	v_add_f16_e32 v38, v165, v38
	v_bfi_b32 v30, 0xffff, v129, v30
	v_pk_add_f16 v3, v90, v3
	v_mul_f16_e32 v90, 0x3b76, v44
	v_pk_add_f16 v37, v39, v37
	v_pk_mul_f16 v14, 0xb1e1, v14 op_sel_hi:[0,1]
	v_pk_add_f16 v3, v15, v3
	v_mul_f16_e32 v15, 0x3722, v153
	v_sub_f16_e32 v90, v90, v150
	v_pk_add_f16 v35, v35, v37
	v_bfi_b32 v37, 0xffff, v181, v127
	v_pk_add_f16 v3, v10, v3
	v_mul_f16_e32 v10, 0xb461, v153
	v_add_f16_e32 v15, v162, v15
	v_pk_add_f16 v3, v11, v3
	v_mul_f16_e32 v11, 0xb461, v44
	v_add_f16_e32 v10, v170, v10
	v_add_f16_sdwa v15, v15, v2 dst_sel:DWORD dst_unused:UNUSED_PAD src0_sel:DWORD src1_sel:WORD_1
	v_pk_add_f16 v3, v12, v3
	v_sub_f16_e32 v11, v11, v68
	v_mul_f16_e32 v12, 0x2de8, v153
	v_mul_f16_e32 v68, 0x39e9, v153
	v_add_f16_sdwa v10, v10, v2 dst_sel:DWORD dst_unused:UNUSED_PAD src0_sel:DWORD src1_sel:WORD_1
	v_pk_add_f16 v3, v13, v3
	v_mul_f16_e32 v13, 0x2de8, v44
	v_add_f16_e32 v12, v164, v12
	v_add_f16_e32 v68, v152, v68
	;; [unrolled: 1-line block ×3, first 2 shown]
	v_pk_add_f16 v3, v8, v3
	v_mul_f16_e32 v8, 0xb8d2, v153
	v_sub_f16_e32 v13, v13, v67
	v_mul_f16_e32 v67, 0x3722, v44
	v_add_f16_sdwa v12, v12, v2 dst_sel:DWORD dst_unused:UNUSED_PAD src0_sel:DWORD src1_sel:WORD_1
	v_pk_add_f16 v3, v9, v3
	v_mul_f16_e32 v9, 0xb8d2, v44
	v_add_f16_e32 v8, v174, v8
	v_sub_f16_e32 v67, v67, v158
	v_add_f16_e32 v13, v13, v2
	v_pk_add_f16 v3, v6, v3
	v_mul_f16_e32 v6, 0xbacd, v153
	v_sub_f16_e32 v9, v9, v92
	v_add_f16_sdwa v8, v8, v2 dst_sel:DWORD dst_unused:UNUSED_PAD src0_sel:DWORD src1_sel:WORD_1
	v_add_f16_e32 v67, v67, v2
	v_pk_add_f16 v3, v7, v3
	v_add_f16_e32 v6, v176, v6
	v_mul_f16_e32 v7, 0xbacd, v44
	v_add_f16_e32 v9, v9, v2
	v_add_f16_sdwa v68, v68, v2 dst_sel:DWORD dst_unused:UNUSED_PAD src0_sel:DWORD src1_sel:WORD_1
	v_pk_add_f16 v3, v4, v3
	v_mul_f16_e32 v4, 0x3722, v45
	v_sub_f16_e32 v7, v7, v122
	v_add_f16_sdwa v6, v6, v2 dst_sel:DWORD dst_unused:UNUSED_PAD src0_sel:DWORD src1_sel:WORD_1
	v_pk_add_f16 v3, v5, v3
	v_add_f16_e32 v4, v169, v4
	v_mul_f16_e32 v5, 0x2de8, v136
	v_add_f16_e32 v7, v7, v2
	v_add_f16_e32 v2, v90, v2
	v_mul_f16_e32 v90, 0x3722, v52
	v_add_f16_e32 v4, v4, v6
	v_add_f16_e32 v5, v178, v5
	v_mul_f16_e32 v6, 0xb8d2, v141
	v_pk_add_f16 v0, v0, v3
	v_sub_f16_e32 v84, v90, v84
	v_add_f16_e32 v4, v5, v4
	v_mul_f16_e32 v5, 0x2de8, v47
	v_add_f16_e32 v6, v185, v6
	v_add_f16_e32 v7, v84, v7
	v_mul_f16_e32 v84, 0xb461, v45
	v_pk_add_f16 v0, v1, v0
	v_sub_f16_e32 v5, v5, v91
	v_add_f16_e32 v4, v6, v4
	v_mul_f16_e32 v6, 0x3b76, v146
	v_add_f16_e32 v84, v160, v84
	v_pk_add_f16 v0, v43, v0
	v_add_f16_e32 v5, v5, v7
	v_mul_f16_e32 v7, 0xb8d2, v49
	v_add_f16_e32 v6, v189, v6
	v_add_f16_e32 v8, v84, v8
	v_mul_f16_e32 v84, 0x3b76, v136
	v_sub_f16_e32 v7, v7, v88
	v_add_f16_e32 v4, v6, v4
	v_mul_f16_e32 v6, 0xbbdd, v155
	v_add_f16_e32 v84, v171, v84
	v_add_f16_e32 v5, v7, v5
	v_mul_f16_e32 v7, 0x3b76, v53
	v_add_f16_e32 v6, v193, v6
	v_add_f16_e32 v8, v84, v8
	v_mul_f16_e32 v84, 0xbacd, v141
	v_sub_f16_e32 v7, v7, v89
	v_add_f16_e32 v4, v6, v4
	v_mul_f16_e32 v6, 0x39e9, v166
	v_add_f16_e32 v84, v179, v84
	v_add_f16_e32 v5, v7, v5
	v_mul_f16_e32 v7, 0xbbdd, v55
	v_add_f16_e32 v6, v195, v6
	v_sub_f16_e32 v7, v7, v87
	v_add_f16_e32 v4, v6, v4
	v_mul_f16_e32 v6, 0xb461, v33
	v_add_f16_e32 v5, v7, v5
	v_mul_f16_e32 v7, 0x39e9, v58
	v_add_f16_e32 v6, v197, v6
	v_sub_f16_e32 v7, v7, v86
	v_add_f16_e32 v4, v6, v4
	v_mul_f16_e32 v6, 0xb461, v61
	v_add_f16_e32 v5, v7, v5
	v_add_f16_e32 v7, v84, v8
	v_mul_f16_e32 v8, 0x2de8, v146
	v_mul_f16_e32 v84, 0xb461, v52
	v_sub_f16_e32 v6, v6, v85
	v_add_f16_e32 v8, v187, v8
	v_sub_f16_e32 v77, v84, v77
	v_add_f16_e32 v5, v6, v5
	v_add_f16_e32 v6, v8, v7
	v_mul_f16_e32 v7, 0x39e9, v155
	v_add_f16_e32 v8, v77, v9
	v_mul_f16_e32 v9, 0x3b76, v47
	v_mul_f16_e32 v77, 0xbacd, v45
	v_add_f16_e32 v7, v190, v7
	v_sub_f16_e32 v9, v9, v82
	v_add_f16_e32 v77, v149, v77
	v_add_f16_e32 v6, v7, v6
	v_mul_f16_e32 v7, 0xbbdd, v166
	v_add_f16_e32 v8, v9, v8
	v_mul_f16_e32 v9, 0xbacd, v49
	;; [unrolled: 2-line block ×3, first 2 shown]
	v_add_f16_e32 v7, v192, v7
	v_sub_f16_e32 v9, v9, v83
	v_add_f16_e32 v77, v161, v77
	v_add_f16_e32 v6, v7, v6
	v_mul_f16_e32 v7, 0x3722, v33
	v_add_f16_e32 v8, v9, v8
	v_mul_f16_e32 v9, 0x2de8, v53
	;; [unrolled: 2-line block ×3, first 2 shown]
	v_add_f16_e32 v7, v196, v7
	v_sub_f16_e32 v9, v9, v80
	v_add_f16_e32 v77, v172, v77
	v_add_f16_e32 v6, v7, v6
	;; [unrolled: 1-line block ×3, first 2 shown]
	v_mul_f16_e32 v8, 0x39e9, v55
	v_add_f16_e32 v9, v77, v10
	v_mul_f16_e32 v10, 0xbbdd, v146
	v_mul_f16_e32 v77, 0xbacd, v52
	v_sub_f16_e32 v8, v8, v81
	v_add_f16_e32 v10, v180, v10
	v_sub_f16_e32 v63, v77, v63
	v_add_f16_e32 v7, v8, v7
	v_mul_f16_e32 v8, 0xbbdd, v58
	v_add_f16_e32 v9, v10, v9
	v_mul_f16_e32 v10, 0x2de8, v155
	;; [unrolled: 2-line block ×3, first 2 shown]
	v_sub_f16_e32 v8, v8, v79
	v_add_f16_e32 v10, v186, v10
	v_sub_f16_e32 v63, v63, v66
	v_add_f16_e32 v7, v8, v7
	v_mul_f16_e32 v8, 0x3722, v61
	v_add_f16_e32 v9, v10, v9
	v_mul_f16_e32 v10, 0x3b76, v166
	;; [unrolled: 2-line block ×3, first 2 shown]
	v_sub_f16_e32 v8, v8, v78
	v_add_f16_e32 v10, v191, v10
	v_sub_f16_e32 v63, v63, v69
	v_add_f16_e32 v7, v8, v7
	v_add_f16_e32 v8, v10, v9
	v_mul_f16_e32 v9, 0xb8d2, v33
	v_add_f16_e32 v10, v63, v11
	v_mul_f16_e32 v11, 0xbbdd, v53
	v_mul_f16_e32 v63, 0xbbdd, v45
	v_pack_b32_f16 v6, v7, v6
	v_add_f16_e32 v9, v130, v9
	v_sub_f16_e32 v11, v11, v71
	v_add_f16_e32 v63, v139, v63
	v_add_f16_e32 v8, v9, v8
	;; [unrolled: 1-line block ×3, first 2 shown]
	v_mul_f16_e32 v10, 0x2de8, v55
	v_add_f16_e32 v11, v63, v12
	v_mul_f16_e32 v12, 0xb461, v136
	v_mul_f16_e32 v63, 0xbbdd, v52
	v_sub_f16_e32 v10, v10, v73
	v_add_f16_e32 v12, v147, v12
	v_sub_f16_e32 v57, v63, v57
	v_mul_f16_e32 v63, 0xb8d2, v136
	v_add_f16_e32 v9, v10, v9
	v_mul_f16_e32 v10, 0x3b76, v58
	v_add_f16_e32 v11, v12, v11
	;; [unrolled: 2-line block ×3, first 2 shown]
	v_mul_f16_e32 v57, 0xb461, v47
	v_sub_f16_e32 v10, v10, v75
	v_add_f16_e32 v63, v135, v63
	v_add_f16_e32 v12, v157, v12
	v_sub_f16_e32 v57, v57, v60
	v_add_f16_e32 v9, v10, v9
	v_mul_f16_e32 v10, 0xb8d2, v61
	v_add_f16_e32 v11, v12, v11
	v_mul_f16_e32 v12, 0x3722, v146
	;; [unrolled: 2-line block ×3, first 2 shown]
	v_sub_f16_e32 v10, v10, v76
	v_mul_f16_e32 v60, 0xb8d2, v52
	v_add_f16_e32 v12, v167, v12
	v_mul_f16_e32 v52, 0x39e9, v52
	v_sub_f16_e32 v57, v57, v64
	v_add_f16_e32 v9, v10, v9
	v_sub_f16_e32 v60, v60, v131
	v_add_f16_e32 v10, v12, v11
	v_mul_f16_e32 v11, 0xbacd, v155
	v_add_f16_e32 v12, v57, v13
	v_mul_f16_e32 v13, 0x3722, v53
	v_mul_f16_e32 v57, 0xb8d2, v45
	v_sub_f16_e32 v52, v52, v124
	v_add_f16_e32 v11, v177, v11
	v_pack_b32_f16 v7, v9, v8
	v_sub_f16_e32 v13, v13, v65
	v_add_f16_e32 v57, v134, v57
	v_add_f16_e32 v2, v52, v2
	v_add_f16_e32 v10, v11, v10
	v_mul_f16_e32 v11, 0xb8d2, v166
	v_add_f16_e32 v12, v13, v12
	v_mul_f16_e32 v13, 0xbacd, v55
	v_add_f16_e32 v15, v57, v15
	;; [unrolled: 2-line block ×3, first 2 shown]
	v_perm_b32 v8, v121, v113, 0x5040100
	v_sub_f16_e32 v13, v13, v70
	v_perm_b32 v9, v114, v28, 0x5040100
	v_add_f16_e32 v57, v142, v57
	v_add_f16_e32 v10, v11, v10
	v_mul_f16_e32 v11, 0x39e9, v33
	v_add_f16_e32 v12, v13, v12
	v_add_f16_e32 v13, v57, v15
	v_mul_f16_e32 v15, 0xb461, v141
	v_add_f16_e32 v11, v194, v11
	v_mul_f16_e32 v57, 0xb8d2, v58
	v_add_f16_e32 v15, v148, v15
	v_add_f16_e32 v10, v11, v10
	v_sub_f16_e32 v57, v57, v72
	v_add_f16_e32 v11, v15, v13
	v_mul_f16_e32 v13, 0x39e9, v146
	v_add_f16_e32 v12, v57, v12
	v_mul_f16_e32 v57, 0xbbdd, v47
	;; [unrolled: 2-line block ×3, first 2 shown]
	v_add_f16_e32 v13, v156, v13
	v_sub_f16_e32 v57, v57, v138
	v_sub_f16_e32 v60, v60, v74
	v_add_f16_e32 v11, v13, v11
	v_mul_f16_e32 v13, 0x3b76, v155
	v_add_f16_e32 v15, v57, v15
	v_mul_f16_e32 v57, 0xb461, v49
	;; [unrolled: 2-line block ×3, first 2 shown]
	v_add_f16_e32 v13, v168, v13
	v_sub_f16_e32 v57, v57, v144
	v_pack_b32_f16 v10, v12, v10
	v_add_f16_e32 v60, v175, v60
	v_add_f16_e32 v11, v13, v11
	v_mul_f16_e32 v13, 0x2de8, v45
	v_add_f16_e32 v15, v57, v15
	v_mul_f16_e32 v57, 0x39e9, v53
	v_add_f16_e32 v11, v60, v11
	v_add_f16_e32 v13, v125, v13
	v_mul_f16_e32 v60, 0xbbdd, v141
	v_sub_f16_e32 v57, v57, v151
	v_add_f16_e32 v13, v13, v68
	v_add_f16_e32 v60, v140, v60
	;; [unrolled: 1-line block ×3, first 2 shown]
	v_mul_f16_e32 v57, 0x3b76, v55
	v_add_f16_e32 v13, v63, v13
	v_mul_f16_e32 v63, 0xbacd, v33
	v_mul_f16_e32 v33, 0x3b76, v33
	v_sub_f16_e32 v57, v57, v163
	v_add_f16_e32 v13, v60, v13
	v_add_f16_e32 v32, v32, v63
	v_mul_f16_e32 v60, 0xbacd, v146
	v_add_f16_e32 v15, v57, v15
	v_mul_f16_e32 v57, 0x2de8, v58
	v_add_f16_e32 v31, v31, v33
	v_add_f16_e32 v11, v32, v11
	v_mul_f16_e32 v32, 0x3722, v47
	v_add_f16_e32 v60, v145, v60
	v_sub_f16_e32 v57, v57, v173
	v_bfi_b32 v33, 0xffff, v182, v126
	v_sub_f16_e32 v32, v32, v133
	v_add_f16_e32 v13, v60, v13
	v_add_f16_e32 v15, v57, v15
	v_mul_f16_e32 v57, 0xb461, v155
	v_mul_f16_e32 v60, 0xbacd, v61
	v_add_f16_e32 v2, v32, v2
	v_mul_f16_e32 v32, 0x2de8, v49
	v_add_f16_e32 v57, v154, v57
	v_sub_f16_e32 v60, v60, v188
	v_sub_f16_e32 v32, v32, v137
	v_add_f16_e32 v13, v57, v13
	v_add_f16_e32 v15, v60, v15
	;; [unrolled: 1-line block ×3, first 2 shown]
	v_mul_f16_e32 v32, 0xb461, v53
	v_add_f16_e32 v13, v38, v13
	v_bfi_b32 v38, 0xffff, v128, v41
	v_pack_b32_f16 v11, v15, v11
	v_sub_f16_e32 v32, v32, v143
	v_add_f16_e32 v13, v31, v13
	v_pk_add_f16 v35, v38, v35
	v_add_f16_e32 v2, v32, v2
	v_mul_f16_e32 v32, 0xb8d2, v55
	v_pk_add_f16 v35, v37, v35
	v_mul_f16_e32 v37, 0xbbdd, v61
	v_sub_f16_e32 v32, v32, v123
	v_pk_add_f16 v31, v33, v35
	v_bfi_b32 v33, 0xffff, v183, v34
	v_add_f16_e32 v2, v32, v2
	v_mul_f16_e32 v32, 0xbacd, v58
	v_pk_add_f16 v3, v30, v31
	v_pk_mul_f16 v31, 0x35c8, v46 op_sel_hi:[0,1]
	v_lshlrev_b32_e32 v30, 2, v112
	v_sub_f16_e32 v32, v32, v159
	v_pk_add_f16 v1, v33, v3
	v_pk_fma_f16 v3, 0xbbdd, v44, v14 op_sel:[0,0,1] op_sel_hi:[0,1,0] neg_lo:[0,0,1] neg_hi:[0,0,1]
	v_pk_fma_f16 v14, 0xbbdd, v44, v14 op_sel:[0,0,1] op_sel_hi:[0,1,0]
	v_pk_mul_f16 v33, 0xb836, v48 op_sel_hi:[0,1]
	v_add_f16_e32 v2, v32, v2
	v_sub_f16_e32 v32, v37, v36
	v_alignbit_b32 v13, v13, v1, 16
	v_add_f16_e32 v2, v32, v2
	v_pk_fma_f16 v32, 0x3b76, v45, v31 op_sel_hi:[0,1,1] neg_lo:[0,0,1] neg_hi:[0,0,1]
	v_pk_fma_f16 v31, 0x3b76, v45, v31 op_sel_hi:[0,1,1]
	v_pack_b32_f16 v1, v2, v1
	v_bfi_b32 v2, 0xffff, v3, v14
	ds_write_b32 v30, v0
	ds_write2_b32 v30, v1, v13 offset0:1 offset1:2
	v_alignbit_b32 v1, v31, v32, 16
	v_pk_add_f16 v0, v2, v29 op_sel:[0,1] op_sel_hi:[1,0]
	v_pk_fma_f16 v2, 0xbacd, v47, v33 op_sel:[0,0,1] op_sel_hi:[0,1,0] neg_lo:[0,0,1] neg_hi:[0,0,1]
	v_pk_fma_f16 v13, 0xbacd, v47, v33 op_sel:[0,0,1] op_sel_hi:[0,1,0]
	v_pk_mul_f16 v33, 0x3964, v50 op_sel_hi:[0,1]
	ds_write2_b32 v30, v11, v10 offset0:3 offset1:4
	ds_write2_b32 v30, v7, v6 offset0:5 offset1:6
	v_pk_add_f16 v0, v1, v0
	v_bfi_b32 v1, 0xffff, v14, v3
	v_bfi_b32 v3, 0xffff, v2, v13
	v_pk_fma_f16 v12, 0x39e9, v49, v33 op_sel:[0,0,1] op_sel_hi:[0,1,0] neg_lo:[0,0,1] neg_hi:[0,0,1]
	v_pk_fma_f16 v14, 0x39e9, v49, v33 op_sel:[0,0,1] op_sel_hi:[0,1,0]
	v_pk_mul_f16 v33, 0xba62, v54 op_sel_hi:[0,1]
	v_pk_add_f16 v1, v1, v29 op_sel:[0,1] op_sel_hi:[1,0]
	v_alignbit_b32 v29, v32, v31, 16
	v_bfi_b32 v2, 0xffff, v13, v2
	v_pk_add_f16 v0, v3, v0
	v_bfi_b32 v3, 0xffff, v12, v14
	v_pk_fma_f16 v31, 0xb8d2, v53, v33 op_sel:[0,0,1] op_sel_hi:[0,1,0] neg_lo:[0,0,1] neg_hi:[0,0,1]
	v_pk_add_f16 v1, v29, v1
	v_pk_fma_f16 v32, 0xb8d2, v53, v33 op_sel:[0,0,1] op_sel_hi:[0,1,0]
	v_pk_mul_f16 v13, 0x3b29, v56 op_sel_hi:[0,1]
	v_pk_add_f16 v0, v3, v0
	v_pk_mul_f16 v29, 0x3bf7, v62 op_sel_hi:[0,1]
	v_pk_add_f16 v1, v2, v1
	v_bfi_b32 v2, 0xffff, v14, v12
	v_bfi_b32 v3, 0xffff, v31, v32
	v_pk_fma_f16 v12, 0x3722, v55, v13 op_sel:[0,0,1] op_sel_hi:[0,1,0] neg_lo:[0,0,1] neg_hi:[0,0,1]
	v_pk_fma_f16 v13, 0x3722, v55, v13 op_sel:[0,0,1] op_sel_hi:[0,1,0]
	v_pk_mul_f16 v14, 0xbbb2, v59 op_sel_hi:[0,1]
	v_pk_add_f16 v1, v2, v1
	v_bfi_b32 v2, 0xffff, v32, v31
	v_pk_add_f16 v0, v3, v0
	v_bfi_b32 v3, 0xffff, v12, v13
	v_pk_fma_f16 v15, 0xb461, v58, v14 op_sel:[0,0,1] op_sel_hi:[0,1,0] neg_lo:[0,0,1] neg_hi:[0,0,1]
	v_pk_fma_f16 v14, 0xb461, v58, v14 op_sel:[0,0,1] op_sel_hi:[0,1,0]
	v_pk_add_f16 v1, v2, v1
	v_bfi_b32 v2, 0xffff, v13, v12
	v_pk_add_f16 v0, v3, v0
	v_pk_fma_f16 v12, 0x2de8, v61, v29 op_sel:[0,0,1] op_sel_hi:[0,1,0] neg_lo:[0,0,1] neg_hi:[0,0,1]
	v_bfi_b32 v3, 0xffff, v15, v14
	v_pk_fma_f16 v13, 0x2de8, v61, v29 op_sel:[0,0,1] op_sel_hi:[0,1,0]
	v_pk_add_f16 v1, v2, v1
	v_bfi_b32 v2, 0xffff, v14, v15
	v_perm_b32 v6, v115, v27, 0x5040100
	v_pk_add_f16 v0, v3, v0
	v_bfi_b32 v3, 0xffff, v12, v13
	v_perm_b32 v7, v116, v24, 0x5040100
	v_pk_add_f16 v1, v2, v1
	v_bfi_b32 v2, 0xffff, v13, v12
	v_pk_add_f16 v0, v3, v0
	v_pack_b32_f16 v3, v5, v4
	v_perm_b32 v4, v117, v23, 0x5040100
	v_pk_add_f16 v1, v2, v1
	v_perm_b32 v2, v119, v25, 0x5040100
	v_perm_b32 v5, v118, v26, 0x5040100
	ds_write2_b32 v30, v3, v0 offset0:7 offset1:8
	ds_write2_b32 v30, v1, v2 offset0:9 offset1:10
	;; [unrolled: 1-line block ×5, first 2 shown]
.LBB0_7:
	s_or_b32 exec_lo, exec_lo, s4
	v_and_b32_e32 v0, 0xff, v109
	v_add_co_u32 v57, null, 0x66, v109
	v_add_co_u32 v56, null, 0x99, v109
	v_mul_lo_u16 v0, 0xf1, v0
	v_add_co_u32 v65, null, 0x198, v109
	v_and_b32_e32 v4, 0xff, v57
	v_and_b32_e32 v2, 0xff, v56
	v_lshrrev_b16 v15, 12, v0
	v_and_b32_e32 v0, 0xff, v132
	v_add_co_u32 v55, null, 0xcc, v109
	v_mul_lo_u16 v3, 0xf1, v4
	v_mul_lo_u16 v1, v15, 17
	;; [unrolled: 1-line block ×4, first 2 shown]
	v_add_co_u32 v54, null, 0xff, v109
	v_sub_nc_u16 v64, v109, v1
	v_mov_b32_e32 v1, 0xf0f1
	v_lshrrev_b16 v68, 12, v0
	v_lshrrev_b16 v69, 12, v3
	;; [unrolled: 1-line block ×3, first 2 shown]
	v_add_co_u32 v53, null, 0x132, v109
	v_mul_u32_u24_sdwa v5, v65, v1 dst_sel:DWORD dst_unused:UNUSED_PAD src0_sel:WORD_0 src1_sel:DWORD
	v_mul_lo_u16 v3, v68, 17
	v_mul_lo_u16 v2, v69, 17
	v_mul_lo_u16 v6, v72, 17
	v_mul_u32_u24_sdwa v7, v54, v1 dst_sel:DWORD dst_unused:UNUSED_PAD src0_sel:WORD_0 src1_sel:DWORD
	v_lshrrev_b32_e32 v70, 20, v5
	v_sub_nc_u16 v3, v132, v3
	v_sub_nc_u16 v2, v57, v2
	v_add_co_u32 v52, null, 0x165, v109
	v_mul_lo_u16 v5, v70, 17
	v_and_b32_e32 v73, 0xff, v3
	v_and_b32_e32 v3, 0xff, v55
	;; [unrolled: 1-line block ×3, first 2 shown]
	v_mul_u32_u24_sdwa v8, v53, v1 dst_sel:DWORD dst_unused:UNUSED_PAD src0_sel:WORD_0 src1_sel:DWORD
	v_sub_nc_u16 v74, v65, v5
	v_sub_nc_u16 v5, v56, v6
	v_mul_lo_u16 v3, 0xf1, v3
	v_lshlrev_b32_e32 v2, 3, v73
	v_lshrrev_b32_e32 v78, 20, v7
	v_lshlrev_b16 v6, 1, v74
	s_waitcnt lgkmcnt(0)
	v_lshrrev_b16 v77, 12, v3
	s_barrier
	buffer_gl0_inv
	v_lshlrev_b32_sdwa v3, v51, v6 dst_sel:DWORD dst_unused:UNUSED_PAD src0_sel:DWORD src1_sel:WORD_0
	v_mul_u32_u24_sdwa v1, v52, v1 dst_sel:DWORD dst_unused:UNUSED_PAD src0_sel:WORD_0 src1_sel:DWORD
	v_lshrrev_b32_e32 v81, 20, v8
	global_load_dwordx2 v[43:44], v2, s[0:1]
	v_lshlrev_b16 v0, 1, v64
	global_load_dwordx2 v[29:30], v3, s[0:1]
	v_mul_lo_u16 v3, v78, 17
	v_lshrrev_b32_e32 v82, 20, v1
	v_mul_lo_u16 v1, v81, 17
	v_and_b32_e32 v0, 0xfe, v0
	v_mul_lo_u16 v7, v77, 17
	v_sub_nc_u16 v84, v54, v3
	v_and_b32_e32 v76, 0xff, v5
	v_sub_nc_u16 v86, v53, v1
	v_lshlrev_b32_e32 v0, 2, v0
	v_lshlrev_b32_e32 v5, 3, v75
	v_lshlrev_b16 v1, 1, v84
	v_lshlrev_b32_e32 v6, 3, v76
	v_add_nc_u32_e32 v79, 0x400, v93
	s_clause 0x1
	global_load_dwordx2 v[45:46], v0, s[0:1]
	global_load_dwordx2 v[41:42], v5, s[0:1]
	v_lshlrev_b32_sdwa v1, v51, v1 dst_sel:DWORD dst_unused:UNUSED_PAD src0_sel:DWORD src1_sel:WORD_0
	global_load_dwordx2 v[39:40], v6, s[0:1]
	v_add_nc_u32_e32 v71, 0xc00, v93
	v_add_nc_u32_e32 v80, 0x600, v93
	;; [unrolled: 1-line block ×3, first 2 shown]
	global_load_dwordx2 v[35:36], v1, s[0:1]
	v_sub_nc_u16 v0, v55, v7
	v_add_nc_u32_e32 v83, 0x800, v93
	v_add_nc_u32_e32 v91, 0x1000, v93
	v_mov_b32_e32 v90, 51
	v_mad_u16 v15, v15, 51, v64
	v_and_b32_e32 v85, 0xff, v0
	v_mul_lo_u16 v0, v82, 17
	v_mad_u16 v64, v78, 51, v84
	v_mul_u32_u24_sdwa v68, v68, v90 dst_sel:DWORD dst_unused:UNUSED_PAD src0_sel:WORD_0 src1_sel:DWORD
	v_mul_u32_u24_sdwa v69, v69, v90 dst_sel:DWORD dst_unused:UNUSED_PAD src0_sel:WORD_0 src1_sel:DWORD
	v_lshlrev_b32_e32 v2, 3, v85
	v_sub_nc_u16 v88, v52, v0
	v_lshlrev_b16 v0, 1, v86
	v_mul_u32_u24_sdwa v72, v72, v90 dst_sel:DWORD dst_unused:UNUSED_PAD src0_sel:WORD_0 src1_sel:DWORD
	v_mul_u32_u24_sdwa v77, v77, v90 dst_sel:DWORD dst_unused:UNUSED_PAD src0_sel:WORD_0 src1_sel:DWORD
	global_load_dwordx2 v[37:38], v2, s[0:1]
	v_lshlrev_b16 v2, 1, v88
	v_lshlrev_b32_sdwa v0, v51, v0 dst_sel:DWORD dst_unused:UNUSED_PAD src0_sel:DWORD src1_sel:WORD_0
	v_mad_u16 v70, v70, 51, v74
	v_mad_u16 v78, v81, 51, v86
	;; [unrolled: 1-line block ×3, first 2 shown]
	v_lshlrev_b32_sdwa v1, v51, v2 dst_sel:DWORD dst_unused:UNUSED_PAD src0_sel:DWORD src1_sel:WORD_0
	s_clause 0x1
	global_load_dwordx2 v[33:34], v0, s[0:1]
	global_load_dwordx2 v[31:32], v1, s[0:1]
	ds_read2_b32 v[0:1], v93 offset1:51
	ds_read2_b32 v[2:3], v93 offset0:102 offset1:153
	ds_read2_b32 v[5:6], v93 offset0:204 offset1:255
	ds_read_b32 v89, v93 offset:5304
	ds_read2_b32 v[7:8], v79 offset0:152 offset1:203
	ds_read2_b32 v[9:10], v71 offset0:150 offset1:201
	;; [unrolled: 1-line block ×10, first 2 shown]
	v_lshlrev_b32_sdwa v130, v51, v15 dst_sel:DWORD dst_unused:UNUSED_PAD src0_sel:DWORD src1_sel:BYTE_0
	v_add_lshl_u32 v127, v68, v73, 2
	v_lshlrev_b32_sdwa v125, v51, v64 dst_sel:DWORD dst_unused:UNUSED_PAD src0_sel:DWORD src1_sel:WORD_0
	v_lshlrev_b32_sdwa v122, v51, v70 dst_sel:DWORD dst_unused:UNUSED_PAD src0_sel:DWORD src1_sel:WORD_0
	v_add_lshl_u32 v129, v69, v75, 2
	v_add_lshl_u32 v128, v72, v76, 2
	v_lshlrev_b32_sdwa v124, v51, v78 dst_sel:DWORD dst_unused:UNUSED_PAD src0_sel:DWORD src1_sel:WORD_0
	v_add_lshl_u32 v126, v77, v85, 2
	v_lshlrev_b32_sdwa v123, v51, v81 dst_sel:DWORD dst_unused:UNUSED_PAD src0_sel:DWORD src1_sel:WORD_0
	v_mul_lo_u16 v4, 0xa1, v4
	s_waitcnt lgkmcnt(9)
	v_lshrrev_b32_e32 v90, 16, v8
	s_waitcnt lgkmcnt(8)
	v_lshrrev_b32_e32 v138, 16, v9
	;; [unrolled: 2-line block ×3, first 2 shown]
	v_lshrrev_b32_e32 v140, 16, v10
	v_lshrrev_b32_e32 v141, 16, v12
	s_waitcnt lgkmcnt(6)
	v_lshrrev_b32_e32 v142, 16, v13
	s_waitcnt lgkmcnt(5)
	;; [unrolled: 2-line block ×3, first 2 shown]
	v_lshrrev_b32_e32 v146, 16, v49
	v_lshrrev_b32_e32 v137, 16, v89
	s_waitcnt lgkmcnt(0)
	v_lshrrev_b32_e32 v156, 16, v67
	v_lshrrev_b32_e32 v143, 16, v47
	;; [unrolled: 1-line block ×18, first 2 shown]
	v_lshrrev_b16 v4, 13, v4
	s_waitcnt vmcnt(0)
	s_barrier
	buffer_gl0_inv
	v_mul_lo_u16 v4, v4, 51
	v_mul_f16_sdwa v75, v139, v43 dst_sel:DWORD dst_unused:UNUSED_PAD src0_sel:DWORD src1_sel:WORD_1
	v_mul_f16_sdwa v76, v11, v43 dst_sel:DWORD dst_unused:UNUSED_PAD src0_sel:DWORD src1_sel:WORD_1
	;; [unrolled: 1-line block ×8, first 2 shown]
	v_fma_f16 v15, v67, v29, -v15
	v_fmac_f16_e32 v64, v156, v29
	v_fma_f16 v67, v89, v30, -v68
	v_fmac_f16_e32 v69, v137, v30
	;; [unrolled: 2-line block ×4, first 2 shown]
	v_mul_f16_sdwa v70, v90, v45 dst_sel:DWORD dst_unused:UNUSED_PAD src0_sel:DWORD src1_sel:WORD_1
	v_mul_f16_sdwa v72, v8, v45 dst_sel:DWORD dst_unused:UNUSED_PAD src0_sel:DWORD src1_sel:WORD_1
	;; [unrolled: 1-line block ×16, first 2 shown]
	v_fma_f16 v8, v8, v45, -v70
	v_fmac_f16_e32 v72, v90, v45
	v_fma_f16 v9, v9, v46, -v73
	v_fmac_f16_e32 v74, v138, v46
	;; [unrolled: 2-line block ×3, first 2 shown]
	v_fma_f16 v13, v13, v42, -v84
	v_mul_f16_sdwa v159, v145, v37 dst_sel:DWORD dst_unused:UNUSED_PAD src0_sel:DWORD src1_sel:WORD_1
	v_mul_f16_sdwa v160, v48, v37 dst_sel:DWORD dst_unused:UNUSED_PAD src0_sel:DWORD src1_sel:WORD_1
	v_mul_f16_sdwa v161, v146, v38 dst_sel:DWORD dst_unused:UNUSED_PAD src0_sel:DWORD src1_sel:WORD_1
	v_mul_f16_sdwa v162, v49, v38 dst_sel:DWORD dst_unused:UNUSED_PAD src0_sel:DWORD src1_sel:WORD_1
	v_fmac_f16_e32 v85, v142, v42
	v_fmac_f16_e32 v88, v143, v39
	;; [unrolled: 1-line block ×3, first 2 shown]
	v_fma_f16 v48, v48, v37, -v159
	v_fmac_f16_e32 v160, v145, v37
	v_mul_f16_sdwa v167, v150, v33 dst_sel:DWORD dst_unused:UNUSED_PAD src0_sel:DWORD src1_sel:WORD_1
	v_mul_f16_sdwa v168, v59, v33 dst_sel:DWORD dst_unused:UNUSED_PAD src0_sel:DWORD src1_sel:WORD_1
	;; [unrolled: 1-line block ×8, first 2 shown]
	v_fma_f16 v49, v49, v38, -v161
	v_fmac_f16_e32 v162, v146, v38
	v_fma_f16 v47, v47, v39, -v86
	v_fma_f16 v14, v14, v40, -v157
	;; [unrolled: 1-line block ×3, first 2 shown]
	v_fmac_f16_e32 v164, v147, v35
	v_fma_f16 v50, v50, v36, -v165
	v_fmac_f16_e32 v166, v148, v36
	v_fma_f16 v59, v59, v33, -v167
	;; [unrolled: 2-line block ×5, first 2 shown]
	v_fmac_f16_e32 v174, v154, v32
	v_add_f16_e32 v70, v15, v67
	v_sub_f16_e32 v73, v64, v69
	v_add_f16_e32 v75, v155, v64
	v_add_f16_e32 v64, v64, v69
	v_add_f16_e32 v81, v8, v9
	v_sub_f16_e32 v84, v72, v74
	v_add_f16_e32 v86, v92, v72
	v_add_f16_e32 v72, v72, v74
	;; [unrolled: 4-line block ×4, first 2 shown]
	v_sub_f16_e32 v145, v88, v158
	v_add_f16_e32 v146, v134, v88
	v_add_f16_e32 v88, v88, v158
	;; [unrolled: 1-line block ×5, first 2 shown]
	v_sub_f16_e32 v15, v15, v67
	v_add_f16_e32 v77, v0, v8
	v_sub_f16_e32 v8, v8, v9
	v_add_f16_e32 v144, v47, v14
	;; [unrolled: 2-line block ×3, first 2 shown]
	v_add_f16_e32 v156, v58, v50
	v_add_f16_e32 v160, v164, v166
	;; [unrolled: 1-line block ×5, first 2 shown]
	v_sub_f16_e32 v171, v172, v174
	v_add_f16_e32 v173, v152, v172
	v_add_f16_e32 v172, v172, v174
	v_fmac_f16_e32 v7, -0.5, v70
	v_fmac_f16_e32 v155, -0.5, v64
	v_fma_f16 v0, -0.5, v81, v0
	v_fmac_f16_e32 v92, -0.5, v72
	v_add_f16_e32 v89, v1, v11
	v_sub_f16_e32 v11, v11, v10
	v_fmac_f16_e32 v1, -0.5, v90
	v_fmac_f16_e32 v131, -0.5, v76
	v_add_f16_e32 v139, v2, v12
	v_sub_f16_e32 v12, v12, v13
	v_add_f16_e32 v143, v3, v47
	v_sub_f16_e32 v47, v47, v14
	;; [unrolled: 2-line block ×3, first 2 shown]
	v_fma_f16 v2, -0.5, v140, v2
	v_fmac_f16_e32 v133, -0.5, v82
	v_fmac_f16_e32 v134, -0.5, v88
	v_fma_f16 v5, -0.5, v148, v5
	v_fmac_f16_e32 v135, -0.5, v153
	v_add_f16_e32 v154, v6, v58
	v_sub_f16_e32 v157, v164, v166
	v_add_f16_e32 v159, v136, v164
	v_sub_f16_e32 v58, v58, v50
	;; [unrolled: 2-line block ×5, first 2 shown]
	v_add_f16_e32 v67, v68, v67
	v_add_f16_e32 v68, v75, v69
	;; [unrolled: 1-line block ×5, first 2 shown]
	v_fmac_f16_e32 v3, -0.5, v144
	v_fmac_f16_e32 v6, -0.5, v156
	;; [unrolled: 1-line block ×3, first 2 shown]
	v_fma_f16 v60, -0.5, v163, v60
	v_fmac_f16_e32 v149, -0.5, v167
	v_fmac_f16_e32 v61, -0.5, v169
	;; [unrolled: 1-line block ×3, first 2 shown]
	v_fmamk_f16 v78, v73, 0x3aee, v7
	v_fmac_f16_e32 v7, 0xbaee, v73
	v_fmamk_f16 v73, v15, 0xbaee, v155
	v_fmac_f16_e32 v155, 0x3aee, v15
	v_fmamk_f16 v15, v84, 0x3aee, v0
	v_fmamk_f16 v81, v8, 0xbaee, v92
	v_fmac_f16_e32 v0, 0xbaee, v84
	v_fmac_f16_e32 v92, 0x3aee, v8
	v_add_f16_e32 v10, v89, v10
	v_fmamk_f16 v8, v137, 0x3aee, v1
	v_fmamk_f16 v82, v11, 0xbaee, v131
	v_fmac_f16_e32 v1, 0xbaee, v137
	v_fmac_f16_e32 v131, 0x3aee, v11
	v_add_f16_e32 v13, v139, v13
	v_add_f16_e32 v70, v142, v85
	v_fmamk_f16 v11, v141, 0x3aee, v2
	v_fmac_f16_e32 v2, 0xbaee, v141
	v_fmamk_f16 v84, v12, 0xbaee, v133
	v_fmac_f16_e32 v133, 0x3aee, v12
	;; [unrolled: 2-line block ×5, first 2 shown]
	v_add_f16_e32 v14, v143, v14
	v_add_f16_e32 v72, v146, v158
	;; [unrolled: 1-line block ×10, first 2 shown]
	v_fmamk_f16 v12, v145, 0x3aee, v3
	v_fmac_f16_e32 v3, 0xbaee, v145
	v_fmamk_f16 v48, v157, 0x3aee, v6
	v_fmac_f16_e32 v6, 0xbaee, v157
	v_fmamk_f16 v88, v58, 0xbaee, v136
	v_fmac_f16_e32 v136, 0x3aee, v58
	v_fmamk_f16 v58, v164, 0x3aee, v60
	v_fmac_f16_e32 v60, 0xbaee, v164
	v_fmamk_f16 v89, v59, 0xbaee, v149
	v_fmac_f16_e32 v149, 0x3aee, v59
	v_fmamk_f16 v59, v171, 0x3aee, v61
	v_fmamk_f16 v90, v66, 0xbaee, v152
	v_pack_b32_f16 v9, v9, v64
	v_pack_b32_f16 v15, v15, v81
	v_fmac_f16_e32 v61, 0xbaee, v171
	v_fmac_f16_e32 v152, 0x3aee, v66
	v_pack_b32_f16 v0, v0, v92
	v_pack_b32_f16 v10, v10, v69
	;; [unrolled: 1-line block ×21, first 2 shown]
	ds_write2_b32 v130, v9, v15 offset1:17
	ds_write_b32 v130, v0 offset:136
	ds_write2_b32 v127, v10, v8 offset1:17
	ds_write_b32 v127, v1 offset:136
	;; [unrolled: 2-line block ×6, first 2 shown]
	ds_write2_b32 v124, v62, v58 offset1:17
	v_pack_b32_f16 v2, v7, v155
	v_lshlrev_b32_e32 v5, 5, v109
	v_pack_b32_f16 v61, v61, v152
	v_pack_b32_f16 v0, v67, v68
	v_pack_b32_f16 v1, v78, v73
	ds_write_b32 v124, v60 offset:136
	ds_write2_b32 v123, v63, v59 offset1:17
	ds_write_b32 v123, v61 offset:136
	ds_write2_b32 v122, v0, v1 offset1:17
	ds_write_b32 v122, v2 offset:136
	s_waitcnt lgkmcnt(0)
	s_barrier
	buffer_gl0_inv
	s_clause 0x1
	global_load_dwordx4 v[0:3], v5, s[0:1] offset:136
	global_load_dwordx4 v[12:15], v5, s[0:1] offset:152
	v_mov_b32_e32 v5, 5
	v_sub_nc_u16 v58, v57, v4
	v_lshlrev_b32_sdwa v8, v5, v58 dst_sel:DWORD dst_unused:UNUSED_PAD src0_sel:DWORD src1_sel:BYTE_0
	s_clause 0x1
	global_load_dwordx4 v[4:7], v8, s[0:1] offset:136
	global_load_dwordx4 v[8:11], v8, s[0:1] offset:152
	ds_read2_b32 v[49:50], v93 offset1:51
	ds_read2_b32 v[47:48], v93 offset0:102 offset1:153
	ds_read2_b32 v[68:69], v79 offset0:50 offset1:101
	;; [unrolled: 1-line block ×12, first 2 shown]
	ds_read_b32 v70, v93 offset:5304
	s_waitcnt vmcnt(0) lgkmcnt(0)
	s_barrier
	buffer_gl0_inv
	v_lshrrev_b32_e32 v62, 16, v49
	v_lshrrev_b32_e32 v63, 16, v48
	;; [unrolled: 1-line block ×27, first 2 shown]
	v_mul_f16_sdwa v164, v73, v2 dst_sel:DWORD dst_unused:UNUSED_PAD src0_sel:DWORD src1_sel:WORD_1
	v_mul_f16_sdwa v166, v74, v3 dst_sel:DWORD dst_unused:UNUSED_PAD src0_sel:DWORD src1_sel:WORD_1
	;; [unrolled: 1-line block ×34, first 2 shown]
	v_fmac_f16_e32 v164, v86, v2
	v_fmac_f16_e32 v166, v90, v3
	v_fma_f16 v86, v133, v0, -v174
	v_fmac_f16_e32 v175, v143, v0
	v_fmac_f16_e32 v177, v144, v1
	v_fma_f16 v75, v75, v3, -v180
	v_fma_f16 v90, v137, v12, -v182
	v_fmac_f16_e32 v186, v149, v14
	v_fma_f16 v89, v89, v15, -v187
	v_fmac_f16_e32 v188, v150, v15
	v_mul_f16_sdwa v161, v78, v1 dst_sel:DWORD dst_unused:UNUSED_PAD src0_sel:DWORD src1_sel:WORD_1
	v_mul_f16_sdwa v167, v92, v12 dst_sel:DWORD dst_unused:UNUSED_PAD src0_sel:DWORD src1_sel:WORD_1
	;; [unrolled: 1-line block ×9, first 2 shown]
	v_fma_f16 v159, v48, v0, -v159
	v_fmac_f16_e32 v160, v63, v0
	v_fmac_f16_e32 v162, v78, v1
	;; [unrolled: 1-line block ×3, first 2 shown]
	v_fma_f16 v78, v81, v13, -v168
	v_fma_f16 v81, v85, v14, -v170
	;; [unrolled: 1-line block ×3, first 2 shown]
	v_fmac_f16_e32 v173, v142, v15
	v_fma_f16 v69, v69, v1, -v176
	v_fma_f16 v88, v135, v2, -v178
	v_fmac_f16_e32 v179, v145, v2
	v_fmac_f16_e32 v181, v146, v3
	;; [unrolled: 1-line block ×3, first 2 shown]
	v_fma_f16 v82, v82, v13, -v183
	v_fmac_f16_e32 v184, v148, v13
	v_fma_f16 v92, v139, v14, -v185
	v_fmac_f16_e32 v190, v151, v4
	;; [unrolled: 2-line block ×3, first 2 shown]
	v_fma_f16 v63, v76, v7, -v195
	v_fma_f16 v76, v84, v9, -v197
	v_fmac_f16_e32 v198, v156, v9
	v_add_f16_e32 v145, v86, v89
	v_add_f16_e32 v146, v175, v188
	;; [unrolled: 1-line block ×3, first 2 shown]
	v_sub_f16_e32 v86, v86, v89
	v_sub_f16_e32 v151, v75, v90
	v_mul_f16_sdwa v191, v152, v5 dst_sel:DWORD dst_unused:UNUSED_PAD src0_sel:DWORD src1_sel:WORD_1
	v_mul_f16_sdwa v192, v72, v5 dst_sel:DWORD dst_unused:UNUSED_PAD src0_sel:DWORD src1_sel:WORD_1
	;; [unrolled: 1-line block ×4, first 2 shown]
	v_fma_f16 v74, v74, v3, -v165
	v_fma_f16 v77, v77, v12, -v167
	v_fmac_f16_e32 v169, v131, v13
	v_fma_f16 v131, v134, v4, -v189
	v_fmac_f16_e32 v61, v154, v7
	v_fma_f16 v84, v140, v10, -v199
	v_fma_f16 v70, v70, v11, -v201
	v_fmac_f16_e32 v202, v158, v11
	v_add_f16_e32 v134, v159, v85
	v_add_f16_e32 v135, v160, v173
	v_sub_f16_e32 v85, v159, v85
	v_sub_f16_e32 v140, v160, v173
	v_add_f16_e32 v147, v69, v92
	v_add_f16_e32 v149, v88, v82
	;; [unrolled: 1-line block ×3, first 2 shown]
	v_sub_f16_e32 v69, v69, v92
	v_sub_f16_e32 v82, v88, v82
	;; [unrolled: 1-line block ×3, first 2 shown]
	v_add_f16_e32 v154, v181, v67
	v_add_f16_e32 v159, v133, v76
	v_add_f16_e32 v160, v194, v198
	v_sub_f16_e32 v76, v133, v76
	v_sub_f16_e32 v133, v194, v198
	v_mul_f16_e32 v179, 0x3924, v86
	v_mul_f16_e32 v184, 0xb924, v151
	v_add_f16_e32 v193, v148, v146
	v_mul_f16_e32 v194, 0x3be1, v151
	v_mul_f16_sdwa v196, v155, v8 dst_sel:DWORD dst_unused:UNUSED_PAD src0_sel:DWORD src1_sel:WORD_1
	v_fma_f16 v68, v68, v1, -v161
	v_fma_f16 v73, v73, v2, -v163
	v_fmac_f16_e32 v171, v141, v14
	v_fma_f16 v72, v72, v5, -v191
	v_fmac_f16_e32 v192, v152, v5
	v_fmac_f16_e32 v60, v155, v8
	;; [unrolled: 1-line block ×3, first 2 shown]
	v_sub_f16_e32 v142, v166, v66
	v_add_f16_e32 v143, v74, v77
	v_add_f16_e32 v155, v131, v70
	;; [unrolled: 1-line block ×3, first 2 shown]
	v_sub_f16_e32 v70, v131, v70
	v_sub_f16_e32 v131, v190, v202
	v_fmac_f16_e32 v179, 0x3be1, v69
	v_fmac_f16_e32 v184, 0x3be1, v86
	v_add_f16_e32 v202, v154, v193
	v_fma_f16 v194, v69, 0xb924, -v194
	v_add_f16_e32 v193, v150, v193
	v_fma_f16 v48, v138, v8, -v196
	v_add_f16_e32 v136, v68, v81
	v_add_f16_e32 v137, v162, v171
	;; [unrolled: 1-line block ×4, first 2 shown]
	v_sub_f16_e32 v68, v68, v81
	v_sub_f16_e32 v81, v162, v171
	;; [unrolled: 1-line block ×5, first 2 shown]
	v_add_f16_e32 v153, v75, v90
	v_add_f16_e32 v157, v72, v84
	;; [unrolled: 1-line block ×3, first 2 shown]
	v_sub_f16_e32 v72, v72, v84
	v_sub_f16_e32 v84, v192, v200
	v_mul_f16_e32 v161, 0x3924, v85
	v_mul_f16_e32 v162, 0x3924, v140
	v_fmamk_f16 v163, v134, 0x3a21, v49
	v_fmamk_f16 v164, v135, 0x3a21, v62
	v_mul_f16_e32 v167, 0xb924, v142
	v_fmamk_f16 v168, v143, 0x3a21, v49
	v_add_f16_e32 v192, v147, v145
	v_fmac_f16_e32 v179, 0x3aee, v82
	v_fmac_f16_e32 v184, 0xbaee, v82
	;; [unrolled: 1-line block ×3, first 2 shown]
	v_add_f16_e32 v82, v181, v193
	v_add_f16_e32 v144, v166, v66
	v_sub_f16_e32 v89, v175, v188
	v_sub_f16_e32 v152, v181, v67
	v_mul_f16_e32 v165, 0xb924, v141
	v_add_f16_e32 v174, v136, v134
	v_add_f16_e32 v175, v137, v135
	v_mul_f16_e32 v176, 0x3be1, v141
	v_fmac_f16_e32 v161, 0x3be1, v68
	v_fmac_f16_e32 v162, 0x3be1, v81
	;; [unrolled: 1-line block ×6, first 2 shown]
	v_add_f16_e32 v201, v153, v192
	v_add_f16_e32 v192, v149, v192
	;; [unrolled: 1-line block ×3, first 2 shown]
	v_fmamk_f16 v183, v146, 0x3a21, v64
	v_fmamk_f16 v187, v154, 0x3a21, v64
	v_add_f16_e32 v188, v151, v86
	v_add_f16_e32 v191, v150, v64
	v_fmac_f16_e32 v165, 0x3be1, v85
	v_add_f16_e32 v199, v143, v174
	v_add_f16_e32 v200, v144, v175
	v_fma_f16 v176, v68, 0xb924, -v176
	v_add_f16_e32 v174, v138, v174
	v_add_f16_e32 v175, v139, v175
	v_fmac_f16_e32 v161, 0x3aee, v73
	v_fmac_f16_e32 v162, 0x3aee, v78
	v_fmac_f16_e32 v163, -0.5, v138
	v_fmac_f16_e32 v164, -0.5, v139
	v_fmac_f16_e32 v167, 0xbaee, v78
	v_fmac_f16_e32 v168, -0.5, v138
	v_add_f16_e32 v75, v75, v192
	v_add_f16_e32 v67, v67, v64
	v_fmac_f16_e32 v64, 0x3a21, v148
	v_sub_f16_e32 v92, v177, v186
	v_fmamk_f16 v169, v144, 0x3a21, v62
	v_add_f16_e32 v170, v141, v85
	v_mul_f16_e32 v180, 0x3924, v89
	v_fmamk_f16 v186, v153, 0x3a21, v50
	v_sub_f16_e32 v188, v188, v69
	v_fmac_f16_e32 v165, 0xbaee, v73
	v_fmac_f16_e32 v176, 0x3aee, v73
	v_add_f16_e32 v73, v74, v174
	v_add_f16_e32 v74, v166, v175
	v_fmac_f16_e32 v161, 0x3579, v141
	v_fmac_f16_e32 v162, 0x3579, v142
	;; [unrolled: 1-line block ×7, first 2 shown]
	v_add_f16_e32 v69, v90, v75
	v_fmac_f16_e32 v64, 0x318f, v154
	v_fmamk_f16 v182, v145, 0x3a21, v50
	v_add_f16_e32 v190, v149, v50
	v_fmac_f16_e32 v169, 0x318f, v135
	v_sub_f16_e32 v170, v170, v68
	v_fmac_f16_e32 v180, 0x3be1, v92
	v_fmac_f16_e32 v186, 0x318f, v145
	;; [unrolled: 1-line block ×4, first 2 shown]
	v_add_f16_e32 v68, v77, v73
	v_add_f16_e32 v66, v66, v74
	;; [unrolled: 1-line block ×3, first 2 shown]
	v_sub_f16_e32 v74, v164, v161
	v_add_f16_e32 v75, v167, v168
	v_add_f16_e32 v69, v69, v50
	v_fmac_f16_e32 v50, 0x3a21, v147
	v_fmac_f16_e32 v64, -0.5, v150
	v_add_f16_e32 v163, v157, v155
	v_add_f16_e32 v164, v158, v156
	v_fmamk_f16 v178, v136, 0x3a21, v49
	v_mul_f16_e32 v196, 0x3924, v70
	v_fmac_f16_e32 v182, 0x318f, v147
	v_fmac_f16_e32 v169, -0.5, v139
	v_fmac_f16_e32 v180, 0x3aee, v88
	v_fmac_f16_e32 v186, -0.5, v149
	v_fmac_f16_e32 v187, -0.5, v150
	v_fmac_f16_e32 v50, 0x318f, v153
	v_fma_f16 v136, -2.0, v167, v75
	v_fmac_f16_e32 v64, 0xbb84, v146
	v_sub_f16_e32 v146, v63, v48
	v_add_f16_e32 v167, v159, v163
	v_add_f16_e32 v168, v160, v164
	;; [unrolled: 1-line block ×3, first 2 shown]
	v_mul_f16_e32 v177, 0x3be1, v142
	v_mul_f16_e32 v185, 0xb924, v152
	v_add_f16_e32 v189, v152, v89
	v_mul_f16_e32 v195, 0x3be1, v152
	v_fmac_f16_e32 v183, 0x318f, v148
	v_fmac_f16_e32 v196, 0x3be1, v72
	v_fmac_f16_e32 v182, -0.5, v149
	v_fmac_f16_e32 v169, 0xbb84, v137
	v_fmac_f16_e32 v180, 0x3579, v152
	v_fmac_f16_e32 v186, 0xbb84, v147
	v_fmac_f16_e32 v187, 0xbb84, v148
	v_add_f16_e32 v66, v66, v62
	v_fmac_f16_e32 v62, 0x3a21, v137
	v_fmac_f16_e32 v50, -0.5, v149
	v_sub_f16_e32 v147, v61, v60
	v_add_f16_e32 v148, v63, v48
	v_add_f16_e32 v149, v61, v60
	v_mul_f16_e32 v152, 0xb924, v146
	v_add_f16_e32 v63, v63, v167
	v_add_f16_e32 v61, v61, v168
	v_fma_f16 v177, v81, 0xb924, -v177
	v_fmac_f16_e32 v178, 0x318f, v143
	v_sub_f16_e32 v77, v169, v165
	v_fmac_f16_e32 v62, 0x318f, v144
	v_fmac_f16_e32 v196, 0x3aee, v76
	;; [unrolled: 1-line block ×3, first 2 shown]
	v_add_f16_e32 v48, v48, v63
	v_add_f16_e32 v60, v60, v61
	v_mul_f16_e32 v197, 0x3924, v131
	v_fmamk_f16 v198, v155, 0x3a21, v47
	v_fmac_f16_e32 v177, 0x3aee, v78
	v_fmac_f16_e32 v178, -0.5, v138
	v_fmac_f16_e32 v179, 0x3579, v151
	v_fmac_f16_e32 v182, 0xbb84, v153
	v_fmac_f16_e32 v62, -0.5, v139
	v_fma_f16 v137, 2.0, v165, v77
	v_fmac_f16_e32 v50, 0xbb84, v145
	v_fmamk_f16 v145, v156, 0x3a21, v59
	v_fmac_f16_e32 v196, 0x3579, v146
	v_fmamk_f16 v151, v148, 0x3a21, v47
	v_fmamk_f16 v153, v149, 0x3a21, v59
	v_fmac_f16_e32 v152, 0xbaee, v76
	v_add_f16_e32 v165, v146, v70
	v_add_f16_e32 v168, v159, v47
	v_add_f16_e32 v169, v160, v59
	v_mul_f16_e32 v63, 0x3be1, v146
	v_mul_f16_e32 v146, 0x3be1, v147
	v_add_f16_e32 v48, v48, v47
	v_add_f16_e32 v60, v60, v59
	v_fmac_f16_e32 v47, 0x3a21, v157
	v_fmac_f16_e32 v59, 0x3a21, v158
	v_add_f16_e32 v171, v142, v140
	v_add_f16_e32 v172, v138, v49
	v_fmac_f16_e32 v197, 0x3be1, v84
	v_fmac_f16_e32 v183, -0.5, v150
	v_mul_f16_e32 v150, 0xb924, v147
	v_fma_f16 v195, v92, 0xb924, -v195
	v_fmac_f16_e32 v185, 0x3be1, v89
	v_sub_f16_e32 v189, v189, v92
	v_fmac_f16_e32 v190, -0.5, v201
	v_fmac_f16_e32 v176, 0x3579, v85
	v_fmac_f16_e32 v177, 0x3579, v140
	;; [unrolled: 1-line block ×5, first 2 shown]
	v_sub_f16_e32 v165, v165, v72
	v_fma_f16 v63, v72, 0xb924, -v63
	v_fma_f16 v72, v84, 0xb924, -v146
	v_fmac_f16_e32 v47, 0x318f, v148
	v_fmac_f16_e32 v59, 0x318f, v149
	v_sub_f16_e32 v171, v171, v81
	v_fmac_f16_e32 v172, -0.5, v199
	v_fmac_f16_e32 v173, -0.5, v200
	v_fmac_f16_e32 v197, 0x3aee, v133
	v_fmac_f16_e32 v150, 0x3be1, v131
	;; [unrolled: 1-line block ×8, first 2 shown]
	v_mul_f16_e32 v138, 0x3aee, v189
	v_fmac_f16_e32 v190, 0x3aee, v189
	v_add_f16_e32 v49, v68, v49
	v_add_f16_e32 v68, v177, v178
	v_sub_f16_e32 v62, v62, v176
	v_fmac_f16_e32 v63, 0x3aee, v76
	v_fmac_f16_e32 v72, 0x3aee, v133
	v_fmac_f16_e32 v47, -0.5, v159
	v_fmac_f16_e32 v59, -0.5, v160
	v_mul_f16_e32 v203, 0x3aee, v170
	v_mul_f16_e32 v204, 0x3aee, v171
	v_fmac_f16_e32 v172, 0x3aee, v171
	v_fmac_f16_e32 v173, 0xbaee, v170
	;; [unrolled: 1-line block ×4, first 2 shown]
	v_fmac_f16_e32 v151, -0.5, v159
	v_fmac_f16_e32 v153, -0.5, v160
	v_add_f16_e32 v166, v147, v131
	v_add_f16_e32 v61, v148, v163
	;; [unrolled: 1-line block ×3, first 2 shown]
	v_fmac_f16_e32 v191, -0.5, v202
	v_fmac_f16_e32 v194, 0x3579, v86
	v_fmac_f16_e32 v195, 0x3579, v89
	v_fmac_f16_e32 v198, -0.5, v159
	v_fmac_f16_e32 v145, -0.5, v160
	v_fmac_f16_e32 v183, 0xbb84, v154
	v_fmac_f16_e32 v185, 0x3579, v92
	v_fma_f16 v90, -2.0, v138, v190
	v_fma_f16 v138, -2.0, v177, v68
	v_fma_f16 v142, 2.0, v176, v62
	v_fmac_f16_e32 v63, 0x3579, v70
	v_fmac_f16_e32 v72, 0x3579, v131
	;; [unrolled: 1-line block ×4, first 2 shown]
	v_fma_f16 v81, -2.0, v204, v172
	v_fma_f16 v82, 2.0, v203, v173
	v_fmac_f16_e32 v150, 0x3579, v84
	v_fmac_f16_e32 v151, 0xbb84, v157
	v_fmac_f16_e32 v153, 0xbb84, v158
	v_sub_f16_e32 v166, v166, v84
	v_fmac_f16_e32 v168, -0.5, v61
	v_fmac_f16_e32 v169, -0.5, v147
	v_mul_f16_e32 v78, 0x3aee, v188
	v_fmac_f16_e32 v191, 0xbaee, v188
	v_fma_f16 v92, -2.0, v162, v73
	v_fma_f16 v134, 2.0, v161, v74
	v_add_f16_e32 v50, v195, v50
	v_sub_f16_e32 v64, v64, v194
	v_fmac_f16_e32 v198, 0xbb84, v148
	v_fmac_f16_e32 v145, 0xbb84, v149
	v_add_f16_e32 v85, v180, v182
	v_sub_f16_e32 v86, v183, v179
	v_add_f16_e32 v88, v185, v186
	v_sub_f16_e32 v89, v187, v184
	v_pack_b32_f16 v49, v49, v66
	v_pack_b32_f16 v66, v73, v74
	;; [unrolled: 1-line block ×4, first 2 shown]
	v_add_f16_e32 v47, v72, v47
	v_sub_f16_e32 v59, v59, v63
	v_pack_b32_f16 v62, v68, v62
	v_pack_b32_f16 v68, v138, v142
	v_add_f16_e32 v151, v150, v151
	v_sub_f16_e32 v153, v153, v152
	v_mul_f16_e32 v167, 0x3aee, v165
	v_mul_f16_e32 v61, 0x3aee, v166
	v_fmac_f16_e32 v168, 0x3aee, v166
	v_fmac_f16_e32 v169, 0xbaee, v165
	v_pack_b32_f16 v75, v81, v82
	v_pack_b32_f16 v77, v136, v137
	v_fma_f16 v78, 2.0, v78, v191
	v_fma_f16 v143, -2.0, v195, v50
	v_fma_f16 v144, 2.0, v194, v64
	v_add_f16_e32 v154, v197, v198
	v_sub_f16_e32 v145, v145, v196
	v_pack_b32_f16 v81, v92, v134
	v_pack_b32_f16 v67, v69, v67
	v_fma_f16 v135, -2.0, v180, v85
	v_fma_f16 v139, 2.0, v179, v86
	v_fma_f16 v140, -2.0, v185, v88
	v_fma_f16 v141, 2.0, v184, v89
	ds_write2_b32 v93, v49, v66 offset1:51
	ds_write2_b32 v93, v73, v74 offset0:102 offset1:153
	ds_write2_b32 v93, v62, v68 offset0:204 offset1:255
	;; [unrolled: 1-line block ×4, first 2 shown]
	v_pack_b32_f16 v49, v85, v86
	v_pack_b32_f16 v62, v88, v89
	v_lshlrev_b32_sdwa v131, v51, v58 dst_sel:DWORD dst_unused:UNUSED_PAD src0_sel:DWORD src1_sel:BYTE_0
	v_pack_b32_f16 v66, v190, v191
	v_pack_b32_f16 v50, v50, v64
	v_fma_f16 v72, -2.0, v72, v47
	v_fma_f16 v63, 2.0, v63, v59
	v_fma_f16 v150, -2.0, v150, v151
	v_fma_f16 v70, 2.0, v152, v153
	;; [unrolled: 2-line block ×4, first 2 shown]
	v_pack_b32_f16 v64, v143, v144
	v_pack_b32_f16 v67, v90, v78
	;; [unrolled: 1-line block ×4, first 2 shown]
	ds_write2_b32 v80, v49, v62 offset0:126 offset1:177
	ds_write2_b32 v83, v66, v50 offset0:100 offset1:151
	v_pack_b32_f16 v48, v48, v60
	v_pack_b32_f16 v49, v154, v145
	v_add_nc_u32_e32 v50, 0xc00, v131
	v_pack_b32_f16 v51, v151, v153
	v_pack_b32_f16 v58, v168, v169
	v_add_nc_u32_e32 v60, 0xe00, v131
	;; [unrolled: 3-line block ×3, first 2 shown]
	v_pack_b32_f16 v61, v61, v76
	v_pack_b32_f16 v63, v150, v70
	ds_write2_b32 v83, v64, v67 offset0:202 offset1:253
	ds_write2_b32 v71, v68, v69 offset0:48 offset1:99
	v_pack_b32_f16 v64, v161, v162
	ds_write2_b32 v50, v48, v49 offset0:150 offset1:201
	ds_write2_b32 v60, v51, v58 offset0:124 offset1:175
	ds_write2_b32 v62, v47, v59 offset0:98 offset1:149
	ds_write2_b32 v62, v61, v63 offset0:200 offset1:251
	ds_write_b32 v131, v64 offset:5304
	v_lshlrev_b32_e32 v47, 3, v109
	v_lshlrev_b32_e32 v48, 3, v132
	s_waitcnt lgkmcnt(0)
	s_barrier
	buffer_gl0_inv
	s_clause 0x1
	global_load_dwordx2 v[63:64], v47, s[0:1] offset:1768
	global_load_dwordx2 v[61:62], v48, s[0:1] offset:1768
	v_lshlrev_b32_e32 v47, 3, v57
	v_lshlrev_b32_e32 v48, 3, v56
	;; [unrolled: 1-line block ×3, first 2 shown]
	s_clause 0x1
	global_load_dwordx2 v[59:60], v47, s[0:1] offset:1768
	global_load_dwordx2 v[57:58], v48, s[0:1] offset:1768
	v_lshlrev_b32_e32 v47, 3, v55
	v_lshlrev_b32_e32 v48, 3, v54
	global_load_dwordx2 v[55:56], v47, s[0:1] offset:1768
	v_lshlrev_b32_e32 v47, 3, v53
	global_load_dwordx2 v[53:54], v48, s[0:1] offset:1768
	;; [unrolled: 2-line block ×3, first 2 shown]
	v_lshlrev_b32_e32 v47, 3, v65
	s_clause 0x1
	global_load_dwordx2 v[49:50], v48, s[0:1] offset:1768
	global_load_dwordx2 v[47:48], v47, s[0:1] offset:1768
	ds_read2_b32 v[76:77], v93 offset1:51
	ds_read2_b32 v[67:68], v79 offset0:152 offset1:203
	ds_read2_b32 v[72:73], v71 offset0:150 offset1:201
	;; [unrolled: 1-line block ×7, first 2 shown]
	v_add_co_u32 v81, s0, s2, v69
	ds_read2_b32 v[138:139], v91 offset0:98 offset1:149
	ds_read2_b32 v[140:141], v83 offset0:202 offset1:253
	ds_read2_b32 v[69:70], v79 offset0:50 offset1:101
	ds_read2_b32 v[142:143], v91 offset0:200 offset1:251
	ds_read2_b32 v[144:145], v71 offset0:48 offset1:99
	ds_read_b32 v78, v93 offset:5304
	v_add_co_ci_u32_e64 v82, null, s3, 0, s0
	s_waitcnt lgkmcnt(13)
	v_lshrrev_b32_e32 v86, 16, v76
	s_waitcnt lgkmcnt(12)
	v_lshrrev_b32_e32 v90, 16, v68
	;; [unrolled: 2-line block ×4, first 2 shown]
	v_lshrrev_b32_e32 v148, 16, v73
	v_lshrrev_b32_e32 v150, 16, v75
	s_waitcnt lgkmcnt(7)
	v_lshrrev_b32_e32 v153, 16, v136
	v_lshrrev_b32_e32 v156, 16, v137
	s_waitcnt lgkmcnt(5)
	v_lshrrev_b32_e32 v157, 16, v138
	v_lshrrev_b32_e32 v151, 16, v88
	v_lshrrev_b32_e32 v154, 16, v89
	s_waitcnt lgkmcnt(4)
	v_lshrrev_b32_e32 v158, 16, v140
	;; [unrolled: 4-line block ×3, first 2 shown]
	s_waitcnt lgkmcnt(1)
	v_lshrrev_b32_e32 v162, 16, v144
	v_lshrrev_b32_e32 v163, 16, v143
	v_lshrrev_b32_e32 v164, 16, v145
	v_lshrrev_b32_e32 v146, 16, v77
	v_lshrrev_b32_e32 v152, 16, v85
	v_lshrrev_b32_e32 v132, 16, v66
	s_waitcnt lgkmcnt(0)
	v_lshrrev_b32_e32 v165, 16, v78
	v_lshrrev_b32_e32 v149, 16, v84
	;; [unrolled: 1-line block ×6, first 2 shown]
	s_waitcnt vmcnt(8)
	v_mul_f16_sdwa v166, v90, v63 dst_sel:DWORD dst_unused:UNUSED_PAD src0_sel:DWORD src1_sel:WORD_1
	v_mul_f16_sdwa v167, v68, v63 dst_sel:DWORD dst_unused:UNUSED_PAD src0_sel:DWORD src1_sel:WORD_1
	;; [unrolled: 1-line block ×4, first 2 shown]
	s_waitcnt vmcnt(7)
	v_mul_f16_sdwa v170, v147, v61 dst_sel:DWORD dst_unused:UNUSED_PAD src0_sel:DWORD src1_sel:WORD_1
	v_mul_f16_sdwa v171, v74, v61 dst_sel:DWORD dst_unused:UNUSED_PAD src0_sel:DWORD src1_sel:WORD_1
	;; [unrolled: 1-line block ×4, first 2 shown]
	s_waitcnt vmcnt(6)
	v_mul_f16_sdwa v174, v150, v59 dst_sel:DWORD dst_unused:UNUSED_PAD src0_sel:DWORD src1_sel:WORD_1
	s_waitcnt vmcnt(5)
	v_mul_f16_sdwa v178, v153, v57 dst_sel:DWORD dst_unused:UNUSED_PAD src0_sel:DWORD src1_sel:WORD_1
	v_mul_f16_sdwa v175, v75, v59 dst_sel:DWORD dst_unused:UNUSED_PAD src0_sel:DWORD src1_sel:WORD_1
	;; [unrolled: 1-line block ×5, first 2 shown]
	s_waitcnt vmcnt(4)
	v_mul_f16_sdwa v182, v156, v55 dst_sel:DWORD dst_unused:UNUSED_PAD src0_sel:DWORD src1_sel:WORD_1
	v_mul_f16_sdwa v184, v157, v56 dst_sel:DWORD dst_unused:UNUSED_PAD src0_sel:DWORD src1_sel:WORD_1
	s_waitcnt vmcnt(3)
	v_mul_f16_sdwa v187, v140, v53 dst_sel:DWORD dst_unused:UNUSED_PAD src0_sel:DWORD src1_sel:WORD_1
	v_mul_f16_sdwa v189, v139, v54 dst_sel:DWORD dst_unused:UNUSED_PAD src0_sel:DWORD src1_sel:WORD_1
	;; [unrolled: 1-line block ×7, first 2 shown]
	s_waitcnt vmcnt(2)
	v_mul_f16_sdwa v190, v160, v51 dst_sel:DWORD dst_unused:UNUSED_PAD src0_sel:DWORD src1_sel:WORD_1
	v_mul_f16_sdwa v192, v161, v52 dst_sel:DWORD dst_unused:UNUSED_PAD src0_sel:DWORD src1_sel:WORD_1
	s_waitcnt vmcnt(1)
	v_mul_f16_sdwa v194, v162, v49 dst_sel:DWORD dst_unused:UNUSED_PAD src0_sel:DWORD src1_sel:WORD_1
	v_mul_f16_sdwa v196, v163, v50 dst_sel:DWORD dst_unused:UNUSED_PAD src0_sel:DWORD src1_sel:WORD_1
	s_waitcnt vmcnt(0)
	v_mul_f16_sdwa v198, v164, v47 dst_sel:DWORD dst_unused:UNUSED_PAD src0_sel:DWORD src1_sel:WORD_1
	v_fma_f16 v68, v68, v63, -v166
	v_fmac_f16_e32 v167, v90, v63
	v_fma_f16 v72, v72, v64, -v168
	v_fmac_f16_e32 v169, v92, v64
	;; [unrolled: 2-line block ×4, first 2 shown]
	v_fma_f16 v75, v75, v59, -v174
	v_fma_f16 v90, v136, v57, -v178
	;; [unrolled: 1-line block ×4, first 2 shown]
	v_fmac_f16_e32 v187, v158, v53
	v_fmac_f16_e32 v189, v159, v54
	v_mul_f16_sdwa v183, v137, v55 dst_sel:DWORD dst_unused:UNUSED_PAD src0_sel:DWORD src1_sel:WORD_1
	v_mul_f16_sdwa v191, v141, v51 dst_sel:DWORD dst_unused:UNUSED_PAD src0_sel:DWORD src1_sel:WORD_1
	;; [unrolled: 1-line block ×7, first 2 shown]
	v_fmac_f16_e32 v175, v150, v59
	v_fma_f16 v88, v88, v60, -v176
	v_fmac_f16_e32 v177, v151, v60
	v_fmac_f16_e32 v179, v153, v57
	v_fma_f16 v89, v89, v58, -v180
	v_fmac_f16_e32 v181, v154, v58
	v_fmac_f16_e32 v185, v157, v56
	v_fma_f16 v137, v140, v53, -v186
	v_fma_f16 v138, v139, v54, -v188
	;; [unrolled: 1-line block ×7, first 2 shown]
	v_add_f16_e32 v144, v76, v68
	v_add_f16_e32 v145, v68, v72
	;; [unrolled: 1-line block ×8, first 2 shown]
	v_mul_f16_sdwa v200, v165, v48 dst_sel:DWORD dst_unused:UNUSED_PAD src0_sel:DWORD src1_sel:WORD_1
	v_fmac_f16_e32 v183, v156, v55
	v_fmac_f16_e32 v191, v160, v51
	;; [unrolled: 1-line block ×5, first 2 shown]
	v_sub_f16_e32 v147, v167, v169
	v_add_f16_e32 v148, v86, v167
	v_sub_f16_e32 v68, v68, v72
	v_add_f16_e32 v151, v77, v74
	;; [unrolled: 2-line block ×4, first 2 shown]
	v_add_f16_e32 v162, v175, v177
	v_sub_f16_e32 v75, v75, v88
	v_sub_f16_e32 v165, v179, v181
	v_add_f16_e32 v166, v152, v179
	v_add_f16_e32 v167, v179, v181
	v_add_f16_e32 v168, v65, v92
	v_add_f16_e32 v179, v132, v187
	v_add_f16_e32 v144, v144, v72
	v_fma_f16 v145, -0.5, v145, v76
	v_fmac_f16_e32 v86, -0.5, v150
	v_fmac_f16_e32 v77, -0.5, v153
	;; [unrolled: 1-line block ×3, first 2 shown]
	v_add_f16_e32 v88, v158, v88
	v_fma_f16 v158, -0.5, v170, v65
	v_fmac_f16_e32 v132, -0.5, v180
	v_sub_f16_e32 v65, v137, v138
	v_add_f16_e32 v72, v139, v140
	v_fmac_f16_e32 v197, v163, v50
	v_sub_f16_e32 v160, v175, v177
	v_add_f16_e32 v161, v149, v175
	v_add_f16_e32 v163, v85, v90
	;; [unrolled: 1-line block ×3, first 2 shown]
	v_fma_f16 v84, -0.5, v159, v84
	v_fmac_f16_e32 v149, -0.5, v162
	v_add_f16_e32 v157, v168, v136
	v_fmamk_f16 v162, v147, 0x3aee, v145
	v_fmac_f16_e32 v145, 0xbaee, v147
	v_fmamk_f16 v147, v68, 0xbaee, v86
	v_fmac_f16_e32 v86, 0x3aee, v68
	;; [unrolled: 2-line block ×4, first 2 shown]
	v_fmamk_f16 v168, v65, 0xbaee, v132
	v_add_f16_e32 v73, v69, v139
	v_fmac_f16_e32 v132, 0x3aee, v65
	v_add_f16_e32 v65, v191, v193
	v_fma_f16 v74, -0.5, v72, v69
	v_sub_f16_e32 v69, v191, v193
	v_fmac_f16_e32 v199, v164, v47
	v_fma_f16 v78, v78, v48, -v200
	v_add_f16_e32 v164, v90, v89
	v_sub_f16_e32 v90, v90, v89
	v_add_f16_e32 v89, v163, v89
	v_fmamk_f16 v163, v160, 0x3aee, v84
	v_fmac_f16_e32 v84, 0xbaee, v160
	v_fmamk_f16 v160, v75, 0xbaee, v149
	v_fmac_f16_e32 v149, 0x3aee, v75
	v_add_f16_e32 v72, v73, v140
	v_add_f16_e32 v75, v135, v191
	v_fmac_f16_e32 v135, -0.5, v65
	v_sub_f16_e32 v65, v139, v140
	v_fmamk_f16 v73, v69, 0x3aee, v74
	v_fmac_f16_e32 v74, 0xbaee, v69
	v_add_f16_e32 v69, v141, v142
	v_sub_f16_e32 v92, v92, v136
	v_add_f16_e32 v175, v66, v137
	v_add_f16_e32 v176, v137, v138
	;; [unrolled: 1-line block ×3, first 2 shown]
	v_fmamk_f16 v137, v65, 0xbaee, v135
	v_add_f16_e32 v75, v70, v141
	v_fmac_f16_e32 v135, 0x3aee, v65
	v_add_f16_e32 v65, v195, v197
	v_fmac_f16_e32 v70, -0.5, v69
	v_sub_f16_e32 v69, v195, v197
	v_add_f16_e32 v140, v143, v78
	v_add_f16_e32 v174, v183, v185
	v_fmac_f16_e32 v85, -0.5, v164
	v_fmac_f16_e32 v152, -0.5, v167
	v_add_f16_e32 v148, v148, v169
	v_add_f16_e32 v151, v156, v173
	;; [unrolled: 1-line block ×6, first 2 shown]
	v_fmac_f16_e32 v134, -0.5, v65
	v_sub_f16_e32 v65, v141, v142
	v_fmamk_f16 v76, v69, 0x3aee, v70
	v_fmac_f16_e32 v70, 0xbaee, v69
	v_add_f16_e32 v69, v67, v143
	v_fmac_f16_e32 v67, -0.5, v140
	v_sub_f16_e32 v140, v199, v201
	v_add_f16_e32 v142, v133, v199
	v_sub_f16_e32 v171, v183, v185
	v_add_f16_e32 v172, v155, v183
	v_fmac_f16_e32 v155, -0.5, v174
	v_fmamk_f16 v164, v165, 0x3aee, v85
	v_fmac_f16_e32 v85, 0xbaee, v165
	v_fmamk_f16 v165, v90, 0xbaee, v152
	v_fmac_f16_e32 v152, 0x3aee, v90
	v_add_f16_e32 v139, v138, v197
	v_fmamk_f16 v138, v65, 0xbaee, v134
	v_fmac_f16_e32 v134, 0x3aee, v65
	v_add_f16_e32 v69, v69, v78
	v_fmamk_f16 v65, v140, 0x3aee, v67
	v_sub_f16_e32 v78, v143, v78
	v_fmac_f16_e32 v67, 0xbaee, v140
	v_add_f16_e32 v140, v142, v201
	v_pack_b32_f16 v142, v144, v148
	v_pack_b32_f16 v143, v150, v151
	v_sub_f16_e32 v178, v187, v189
	v_add_f16_e32 v156, v166, v181
	v_fmac_f16_e32 v66, -0.5, v176
	v_add_f16_e32 v141, v199, v201
	v_fmamk_f16 v90, v171, 0x3aee, v158
	v_fmamk_f16 v166, v92, 0xbaee, v155
	v_pack_b32_f16 v86, v145, v86
	v_pack_b32_f16 v77, v77, v146
	;; [unrolled: 1-line block ×4, first 2 shown]
	v_add_f16_e32 v159, v172, v185
	v_add_f16_e32 v167, v179, v189
	ds_write2_b32 v93, v142, v143 offset1:51
	v_pack_b32_f16 v68, v68, v154
	v_pack_b32_f16 v142, v163, v160
	v_fmac_f16_e32 v158, 0xbaee, v171
	v_fmac_f16_e32 v155, 0x3aee, v92
	v_fmamk_f16 v92, v178, 0x3aee, v66
	v_fmac_f16_e32 v66, 0xbaee, v178
	v_pack_b32_f16 v88, v88, v153
	v_pack_b32_f16 v89, v89, v156
	v_fmac_f16_e32 v133, -0.5, v141
	ds_write2_b32 v71, v86, v77 offset0:150 offset1:201
	ds_write2_b32 v80, v68, v142 offset0:126 offset1:177
	;; [unrolled: 1-line block ×3, first 2 shown]
	v_pack_b32_f16 v68, v164, v165
	ds_write2_b32 v87, v84, v85 offset0:124 offset1:175
	v_pack_b32_f16 v84, v90, v166
	v_pack_b32_f16 v77, v157, v159
	;; [unrolled: 1-line block ×5, first 2 shown]
	v_fmamk_f16 v141, v78, 0xbaee, v133
	v_pack_b32_f16 v89, v92, v168
	v_pack_b32_f16 v90, v73, v137
	v_fmac_f16_e32 v133, 0x3aee, v78
	ds_write2_b32 v83, v68, v84 offset0:100 offset1:151
	ds_write2_b32 v93, v77, v86 offset0:204 offset1:255
	;; [unrolled: 1-line block ×3, first 2 shown]
	v_pack_b32_f16 v68, v72, v136
	v_pack_b32_f16 v84, v75, v139
	;; [unrolled: 1-line block ×6, first 2 shown]
	ds_write2_b32 v83, v89, v90 offset0:202 offset1:253
	v_pack_b32_f16 v85, v76, v138
	v_pack_b32_f16 v89, v65, v141
	;; [unrolled: 1-line block ×3, first 2 shown]
	ds_write2_b32 v79, v68, v84 offset0:50 offset1:101
	ds_write2_b32 v91, v77, v86 offset0:200 offset1:251
	;; [unrolled: 1-line block ×4, first 2 shown]
	ds_write_b32 v93, v90 offset:5304
	v_add_co_u32 v84, s0, 0x1000, v81
	v_add_co_ci_u32_e64 v85, s0, 0, v82, s0
	v_add_co_u32 v77, s0, 0x1584, v81
	v_add_co_ci_u32_e64 v78, s0, 0, v82, s0
	s_waitcnt lgkmcnt(0)
	s_barrier
	buffer_gl0_inv
	s_clause 0x1
	global_load_dword v68, v[84:85], off offset:1412
	global_load_dword v86, v[77:78], off offset:324
	v_add_co_u32 v84, s0, 0x1800, v81
	v_add_co_ci_u32_e64 v85, s0, 0, v82, s0
	v_add_co_u32 v88, s0, 0x2000, v81
	v_add_co_ci_u32_e64 v89, s0, 0, v82, s0
	v_add_co_u32 v81, s0, 0x2800, v81
	s_clause 0x5
	global_load_dword v90, v[77:78], off offset:648
	global_load_dword v92, v[77:78], off offset:972
	global_load_dword v150, v[77:78], off offset:1296
	global_load_dword v151, v[77:78], off offset:1620
	global_load_dword v152, v[84:85], off offset:1632
	global_load_dword v153, v[77:78], off offset:1944
	v_add_co_ci_u32_e64 v82, s0, 0, v82, s0
	s_clause 0x8
	global_load_dword v154, v[84:85], off offset:1956
	global_load_dword v155, v[88:89], off offset:232
	;; [unrolled: 1-line block ×9, first 2 shown]
	ds_read2_b32 v[81:82], v93 offset1:81
	s_waitcnt lgkmcnt(0)
	v_lshrrev_b32_e32 v84, 16, v81
	v_lshrrev_b32_e32 v85, 16, v82
	s_waitcnt vmcnt(16)
	v_mul_f16_sdwa v88, v84, v68 dst_sel:DWORD dst_unused:UNUSED_PAD src0_sel:DWORD src1_sel:WORD_1
	v_mul_f16_sdwa v89, v81, v68 dst_sel:DWORD dst_unused:UNUSED_PAD src0_sel:DWORD src1_sel:WORD_1
	s_waitcnt vmcnt(15)
	v_mul_f16_sdwa v142, v85, v86 dst_sel:DWORD dst_unused:UNUSED_PAD src0_sel:DWORD src1_sel:WORD_1
	v_mul_f16_sdwa v143, v82, v86 dst_sel:DWORD dst_unused:UNUSED_PAD src0_sel:DWORD src1_sel:WORD_1
	v_fma_f16 v81, v81, v68, -v88
	v_fmac_f16_e32 v89, v84, v68
	v_fma_f16 v68, v82, v86, -v142
	v_fmac_f16_e32 v143, v85, v86
	v_pack_b32_f16 v81, v81, v89
	v_pack_b32_f16 v68, v68, v143
	ds_write2_b32 v93, v81, v68 offset1:81
	ds_read2_b32 v[81:82], v93 offset0:162 offset1:243
	ds_read2_b32 v[84:85], v79 offset0:68 offset1:149
	;; [unrolled: 1-line block ×7, first 2 shown]
	ds_read_b32 v68, v93 offset:5184
	s_waitcnt lgkmcnt(7)
	v_lshrrev_b32_e32 v86, 16, v81
	s_waitcnt vmcnt(14)
	v_mul_f16_sdwa v163, v81, v90 dst_sel:DWORD dst_unused:UNUSED_PAD src0_sel:DWORD src1_sel:WORD_1
	v_lshrrev_b32_e32 v164, 16, v82
	s_waitcnt vmcnt(13)
	v_mul_f16_sdwa v165, v82, v92 dst_sel:DWORD dst_unused:UNUSED_PAD src0_sel:DWORD src1_sel:WORD_1
	s_waitcnt lgkmcnt(6)
	v_lshrrev_b32_e32 v166, 16, v84
	s_waitcnt vmcnt(12)
	v_mul_f16_sdwa v167, v84, v150 dst_sel:DWORD dst_unused:UNUSED_PAD src0_sel:DWORD src1_sel:WORD_1
	v_lshrrev_b32_e32 v168, 16, v85
	s_waitcnt vmcnt(11)
	v_mul_f16_sdwa v169, v85, v151 dst_sel:DWORD dst_unused:UNUSED_PAD src0_sel:DWORD src1_sel:WORD_1
	s_waitcnt lgkmcnt(5)
	v_lshrrev_b32_e32 v170, 16, v88
	s_waitcnt vmcnt(9)
	v_mul_f16_sdwa v171, v88, v153 dst_sel:DWORD dst_unused:UNUSED_PAD src0_sel:DWORD src1_sel:WORD_1
	v_lshrrev_b32_e32 v172, 16, v89
	v_mul_f16_sdwa v173, v89, v152 dst_sel:DWORD dst_unused:UNUSED_PAD src0_sel:DWORD src1_sel:WORD_1
	s_waitcnt lgkmcnt(4)
	v_lshrrev_b32_e32 v174, 16, v142
	s_waitcnt vmcnt(8)
	v_mul_f16_sdwa v175, v142, v154 dst_sel:DWORD dst_unused:UNUSED_PAD src0_sel:DWORD src1_sel:WORD_1
	v_lshrrev_b32_e32 v176, 16, v143
	s_waitcnt vmcnt(7)
	v_mul_f16_sdwa v177, v143, v155 dst_sel:DWORD dst_unused:UNUSED_PAD src0_sel:DWORD src1_sel:WORD_1
	s_waitcnt lgkmcnt(3)
	v_lshrrev_b32_e32 v178, 16, v144
	s_waitcnt vmcnt(6)
	v_mul_f16_sdwa v179, v144, v156 dst_sel:DWORD dst_unused:UNUSED_PAD src0_sel:DWORD src1_sel:WORD_1
	v_lshrrev_b32_e32 v180, 16, v145
	s_waitcnt vmcnt(5)
	;; [unrolled: 7-line block ×4, first 2 shown]
	v_mul_f16_sdwa v189, v149, v161 dst_sel:DWORD dst_unused:UNUSED_PAD src0_sel:DWORD src1_sel:WORD_1
	s_waitcnt lgkmcnt(0)
	v_lshrrev_b32_e32 v190, 16, v68
	v_mul_f16_sdwa v192, v86, v90 dst_sel:DWORD dst_unused:UNUSED_PAD src0_sel:DWORD src1_sel:WORD_1
	v_fmac_f16_e32 v163, v86, v90
	v_mul_f16_sdwa v86, v164, v92 dst_sel:DWORD dst_unused:UNUSED_PAD src0_sel:DWORD src1_sel:WORD_1
	v_fmac_f16_e32 v165, v164, v92
	;; [unrolled: 2-line block ×9, first 2 shown]
	v_mul_f16_sdwa v178, v180, v157 dst_sel:DWORD dst_unused:UNUSED_PAD src0_sel:DWORD src1_sel:WORD_1
	s_waitcnt vmcnt(0)
	v_mul_f16_sdwa v191, v68, v162 dst_sel:DWORD dst_unused:UNUSED_PAD src0_sel:DWORD src1_sel:WORD_1
	v_fmac_f16_e32 v181, v180, v157
	v_mul_f16_sdwa v180, v182, v158 dst_sel:DWORD dst_unused:UNUSED_PAD src0_sel:DWORD src1_sel:WORD_1
	v_fmac_f16_e32 v183, v182, v158
	;; [unrolled: 2-line block ×5, first 2 shown]
	v_mul_f16_sdwa v188, v190, v162 dst_sel:DWORD dst_unused:UNUSED_PAD src0_sel:DWORD src1_sel:WORD_1
	v_fma_f16 v81, v81, v90, -v192
	v_fma_f16 v82, v82, v92, -v86
	;; [unrolled: 1-line block ×10, first 2 shown]
	v_fmac_f16_e32 v191, v190, v162
	v_fma_f16 v143, v146, v158, -v180
	v_fma_f16 v144, v147, v159, -v182
	v_fma_f16 v145, v148, v160, -v184
	v_fma_f16 v146, v149, v161, -v186
	v_fma_f16 v68, v68, v162, -v188
	v_pack_b32_f16 v81, v81, v163
	v_pack_b32_f16 v82, v82, v165
	;; [unrolled: 1-line block ×15, first 2 shown]
	ds_write2_b32 v93, v81, v82 offset0:162 offset1:243
	ds_write2_b32 v79, v84, v85 offset0:68 offset1:149
	;; [unrolled: 1-line block ×7, first 2 shown]
	ds_write_b32 v93, v68 offset:5184
	s_and_saveexec_b32 s1, vcc_lo
	s_cbranch_execz .LBB0_9
; %bb.8:
	s_clause 0x3
	global_load_dword v68, v[77:78], off offset:204
	global_load_dword v84, v[77:78], off offset:528
	;; [unrolled: 1-line block ×4, first 2 shown]
	v_add_co_u32 v81, s0, 0x800, v77
	v_add_co_ci_u32_e64 v82, s0, 0, v78, s0
	s_clause 0x6
	global_load_dword v92, v[77:78], off offset:1500
	global_load_dword v148, v[77:78], off offset:1824
	;; [unrolled: 1-line block ×7, first 2 shown]
	v_add_co_u32 v77, s0, 0x1000, v77
	v_add_co_ci_u32_e64 v78, s0, 0, v78, s0
	s_clause 0x5
	global_load_dword v154, v[81:82], off offset:1720
	global_load_dword v155, v[81:82], off offset:2044
	;; [unrolled: 1-line block ×6, first 2 shown]
	ds_read2_b32 v[77:78], v93 offset0:51 offset1:132
	v_add_nc_u32_e32 v160, 0x200, v93
	s_waitcnt lgkmcnt(0)
	v_lshrrev_b32_e32 v81, 16, v77
	v_lshrrev_b32_e32 v82, 16, v78
	s_waitcnt vmcnt(16)
	v_mul_f16_sdwa v85, v81, v68 dst_sel:DWORD dst_unused:UNUSED_PAD src0_sel:DWORD src1_sel:WORD_1
	v_mul_f16_sdwa v88, v77, v68 dst_sel:DWORD dst_unused:UNUSED_PAD src0_sel:DWORD src1_sel:WORD_1
	s_waitcnt vmcnt(15)
	v_mul_f16_sdwa v89, v82, v84 dst_sel:DWORD dst_unused:UNUSED_PAD src0_sel:DWORD src1_sel:WORD_1
	v_mul_f16_sdwa v142, v78, v84 dst_sel:DWORD dst_unused:UNUSED_PAD src0_sel:DWORD src1_sel:WORD_1
	v_fma_f16 v77, v77, v68, -v85
	v_fmac_f16_e32 v88, v81, v68
	v_fma_f16 v68, v78, v84, -v89
	v_fmac_f16_e32 v142, v82, v84
	v_pack_b32_f16 v77, v77, v88
	v_pack_b32_f16 v68, v68, v142
	ds_write2_b32 v93, v77, v68 offset0:51 offset1:132
	ds_read2_b32 v[77:78], v160 offset0:85 offset1:166
	ds_read2_b32 v[81:82], v79 offset0:119 offset1:200
	v_add_nc_u32_e32 v68, 0xa00, v93
	ds_read2_b32 v[84:85], v83 offset0:25 offset1:106
	ds_read2_b32 v[88:89], v68 offset0:59 offset1:140
	;; [unrolled: 1-line block ×5, first 2 shown]
	ds_read_b32 v161, v93 offset:5388
	s_waitcnt lgkmcnt(7)
	v_lshrrev_b32_e32 v162, 16, v77
	s_waitcnt vmcnt(14)
	v_mul_f16_sdwa v163, v77, v86 dst_sel:DWORD dst_unused:UNUSED_PAD src0_sel:DWORD src1_sel:WORD_1
	v_lshrrev_b32_e32 v164, 16, v78
	s_waitcnt vmcnt(13)
	v_mul_f16_sdwa v165, v78, v90 dst_sel:DWORD dst_unused:UNUSED_PAD src0_sel:DWORD src1_sel:WORD_1
	s_waitcnt lgkmcnt(6)
	v_lshrrev_b32_e32 v166, 16, v81
	s_waitcnt vmcnt(12)
	v_mul_f16_sdwa v167, v81, v92 dst_sel:DWORD dst_unused:UNUSED_PAD src0_sel:DWORD src1_sel:WORD_1
	v_lshrrev_b32_e32 v168, 16, v82
	s_waitcnt vmcnt(11)
	v_mul_f16_sdwa v169, v82, v148 dst_sel:DWORD dst_unused:UNUSED_PAD src0_sel:DWORD src1_sel:WORD_1
	;; [unrolled: 7-line block ×7, first 2 shown]
	s_waitcnt lgkmcnt(0)
	v_lshrrev_b32_e32 v190, 16, v161
	v_mul_f16_sdwa v192, v162, v86 dst_sel:DWORD dst_unused:UNUSED_PAD src0_sel:DWORD src1_sel:WORD_1
	v_fmac_f16_e32 v163, v162, v86
	v_mul_f16_sdwa v162, v164, v90 dst_sel:DWORD dst_unused:UNUSED_PAD src0_sel:DWORD src1_sel:WORD_1
	v_fmac_f16_e32 v165, v164, v90
	;; [unrolled: 2-line block ×9, first 2 shown]
	v_mul_f16_sdwa v178, v180, v154 dst_sel:DWORD dst_unused:UNUSED_PAD src0_sel:DWORD src1_sel:WORD_1
	s_waitcnt vmcnt(0)
	v_mul_f16_sdwa v191, v161, v159 dst_sel:DWORD dst_unused:UNUSED_PAD src0_sel:DWORD src1_sel:WORD_1
	v_fmac_f16_e32 v181, v180, v154
	v_mul_f16_sdwa v180, v182, v155 dst_sel:DWORD dst_unused:UNUSED_PAD src0_sel:DWORD src1_sel:WORD_1
	v_fmac_f16_e32 v183, v182, v155
	;; [unrolled: 2-line block ×5, first 2 shown]
	v_mul_f16_sdwa v188, v190, v159 dst_sel:DWORD dst_unused:UNUSED_PAD src0_sel:DWORD src1_sel:WORD_1
	v_fma_f16 v77, v77, v86, -v192
	v_fma_f16 v78, v78, v90, -v162
	;; [unrolled: 1-line block ×10, first 2 shown]
	v_fmac_f16_e32 v191, v190, v159
	v_fma_f16 v92, v144, v155, -v180
	v_fma_f16 v142, v145, v156, -v182
	;; [unrolled: 1-line block ×5, first 2 shown]
	v_pack_b32_f16 v77, v77, v163
	v_pack_b32_f16 v78, v78, v165
	;; [unrolled: 1-line block ×15, first 2 shown]
	ds_write2_b32 v160, v77, v78 offset0:85 offset1:166
	ds_write2_b32 v79, v81, v82 offset0:119 offset1:200
	;; [unrolled: 1-line block ×7, first 2 shown]
	ds_write_b32 v93, v145 offset:5388
.LBB0_9:
	s_or_b32 exec_lo, exec_lo, s1
	s_waitcnt lgkmcnt(0)
	s_barrier
	buffer_gl0_inv
	ds_read2_b32 v[77:78], v93 offset1:81
	ds_read2_b32 v[89:90], v93 offset0:162 offset1:243
	ds_read2_b32 v[85:86], v79 offset0:68 offset1:149
	;; [unrolled: 1-line block ×7, first 2 shown]
	ds_read_b32 v147, v93 offset:5184
	s_and_saveexec_b32 s0, vcc_lo
	s_cbranch_execz .LBB0_11
; %bb.10:
	v_add_nc_u32_e32 v23, 0x200, v93
	v_add_nc_u32_e32 v24, 0x400, v93
	;; [unrolled: 1-line block ×5, first 2 shown]
	ds_read2_b32 v[73:74], v23 offset0:85 offset1:166
	v_add_nc_u32_e32 v23, 0xa00, v93
	ds_read2_b32 v[75:76], v24 offset0:119 offset1:200
	v_add_nc_u32_e32 v24, 0xc00, v93
	ds_read2_b32 v[71:72], v93 offset0:51 offset1:132
	ds_read2_b32 v[68:69], v25 offset0:25 offset1:106
	ds_read2_b32 v[65:66], v23 offset0:59 offset1:140
	ds_read2_b32 v[25:26], v24 offset0:93 offset1:174
	ds_read2_b32 v[23:24], v27 offset0:127 offset1:208
	ds_read2_b32 v[27:28], v28 offset0:161 offset1:242
	ds_read_b32 v113, v93 offset:5388
	s_waitcnt lgkmcnt(8)
	v_lshrrev_b32_e32 v137, 16, v73
	v_lshrrev_b32_e32 v135, 16, v74
	s_waitcnt lgkmcnt(7)
	v_lshrrev_b32_e32 v139, 16, v75
	v_lshrrev_b32_e32 v138, 16, v76
	;; [unrolled: 3-line block ×8, first 2 shown]
	s_waitcnt lgkmcnt(0)
	v_lshrrev_b32_e32 v121, 16, v113
	v_mov_b32_e32 v67, v66
	v_mov_b32_e32 v70, v68
	;; [unrolled: 1-line block ×3, first 2 shown]
.LBB0_11:
	s_or_b32 exec_lo, exec_lo, s0
	s_waitcnt lgkmcnt(8)
	v_pk_add_f16 v68, v77, v78
	s_waitcnt lgkmcnt(0)
	v_pk_add_f16 v142, v147, v78
	v_pk_add_f16 v78, v78, v147 neg_lo:[0,1] neg_hi:[0,1]
	v_mov_b32_e32 v158, 0xb964
	v_mov_b32_e32 v146, 0x39e9
	v_pk_add_f16 v68, v68, v89
	v_mov_b32_e32 v150, 0xba62
	v_pk_mul_f16 v71, 0xb5c8, v78 op_sel_hi:[0,1]
	v_mul_f16_sdwa v148, v78, v158 dst_sel:DWORD dst_unused:UNUSED_PAD src0_sel:WORD_1 src1_sel:DWORD
	v_mov_b32_e32 v149, 0xb8d2
	v_pk_add_f16 v68, v68, v90
	v_mul_f16_sdwa v151, v142, v146 dst_sel:DWORD dst_unused:UNUSED_PAD src0_sel:WORD_1 src1_sel:DWORD
	v_mul_f16_sdwa v162, v78, v150 dst_sel:DWORD dst_unused:UNUSED_PAD src0_sel:WORD_1 src1_sel:DWORD
	v_fmamk_f16 v164, v142, 0x39e9, v148
	v_fma_f16 v148, v142, 0x39e9, -v148
	v_pk_add_f16 v68, v68, v85
	v_mul_f16_sdwa v163, v142, v149 dst_sel:DWORD dst_unused:UNUSED_PAD src0_sel:WORD_1 src1_sel:DWORD
	v_fmamk_f16 v165, v78, 0x3964, v151
	v_fmac_f16_e32 v151, 0xb964, v78
	v_add_f16_e32 v174, v77, v148
	v_pk_add_f16 v68, v68, v86
	v_mov_b32_e32 v157, 0xbbf7
	v_mov_b32_e32 v155, 0x2de8
	v_add_f16_sdwa v175, v77, v151 dst_sel:DWORD dst_unused:UNUSED_PAD src0_sel:WORD_1 src1_sel:DWORD
	v_fmamk_f16 v151, v78, 0x3a62, v163
	v_pk_add_f16 v68, v68, v81
	v_fmac_f16_e32 v163, 0xba62, v78
	v_mov_b32_e32 v166, 0xbb29
	v_mov_b32_e32 v143, 0x3722
	v_add_f16_sdwa v178, v77, v151 dst_sel:DWORD dst_unused:UNUSED_PAD src0_sel:WORD_1 src1_sel:DWORD
	v_pk_add_f16 v161, v68, v82
	v_pk_fma_f16 v68, 0x3b76, v142, v71 op_sel:[0,0,1] op_sel_hi:[0,1,0]
	v_pk_fma_f16 v71, 0x3b76, v142, v71 op_sel:[0,0,1] op_sel_hi:[0,1,0] neg_lo:[0,0,1] neg_hi:[0,0,1]
	v_pk_add_f16 v151, v92, v89
	v_add_f16_sdwa v183, v77, v163 dst_sel:DWORD dst_unused:UNUSED_PAD src0_sel:WORD_1 src1_sel:DWORD
	v_pk_add_f16 v161, v161, v79
	v_mul_f16_sdwa v152, v78, v166 dst_sel:DWORD dst_unused:UNUSED_PAD src0_sel:WORD_1 src1_sel:DWORD
	v_bfi_b32 v173, 0xffff, v68, v71
	v_mul_f16_sdwa v184, v151, v155 dst_sel:DWORD dst_unused:UNUSED_PAD src0_sel:WORD_1 src1_sel:DWORD
	v_mul_f16_sdwa v153, v142, v143 dst_sel:DWORD dst_unused:UNUSED_PAD src0_sel:WORD_1 src1_sel:DWORD
	v_pk_add_f16 v161, v161, v80
	v_add_f16_e32 v164, v77, v164
	v_add_f16_sdwa v165, v77, v165 dst_sel:DWORD dst_unused:UNUSED_PAD src0_sel:WORD_1 src1_sel:DWORD
	v_fmamk_f16 v167, v142, 0x3722, v152
	v_fmamk_f16 v168, v78, 0x3b29, v153
	v_pk_add_f16 v161, v161, v83
	v_fma_f16 v152, v142, 0x3722, -v152
	v_mov_b32_e32 v144, 0xbbb2
	v_mul_f16_sdwa v154, v78, v157 dst_sel:DWORD dst_unused:UNUSED_PAD src0_sel:WORD_1 src1_sel:DWORD
	v_mul_f16_sdwa v156, v142, v155 dst_sel:DWORD dst_unused:UNUSED_PAD src0_sel:WORD_1 src1_sel:DWORD
	v_pk_add_f16 v161, v161, v84
	v_fmac_f16_e32 v153, 0xbb29, v78
	v_add_f16_e32 v167, v77, v167
	v_add_f16_sdwa v168, v77, v168 dst_sel:DWORD dst_unused:UNUSED_PAD src0_sel:WORD_1 src1_sel:DWORD
	v_add_f16_e32 v176, v77, v152
	v_pk_add_f16 v161, v161, v87
	v_mov_b32_e32 v145, 0xb461
	v_mul_f16_sdwa v159, v78, v144 dst_sel:DWORD dst_unused:UNUSED_PAD src0_sel:WORD_1 src1_sel:DWORD
	v_fmamk_f16 v169, v142, 0x2de8, v154
	v_fmamk_f16 v170, v78, 0x3bf7, v156
	v_pk_add_f16 v148, v161, v88
	v_pk_add_f16 v161, v77, v173
	v_fma_f16 v154, v142, 0x2de8, -v154
	v_add_f16_sdwa v177, v77, v153 dst_sel:DWORD dst_unused:UNUSED_PAD src0_sel:WORD_1 src1_sel:DWORD
	v_mul_f16_sdwa v160, v142, v145 dst_sel:DWORD dst_unused:UNUSED_PAD src0_sel:WORD_1 src1_sel:DWORD
	v_pk_add_f16 v148, v148, v91
	v_fmac_f16_e32 v156, 0xbbf7, v78
	v_fmamk_f16 v171, v142, 0xb461, v159
	v_add_f16_e32 v169, v77, v169
	v_add_f16_sdwa v170, v77, v170 dst_sel:DWORD dst_unused:UNUSED_PAD src0_sel:WORD_1 src1_sel:DWORD
	v_pk_add_f16 v148, v148, v92
	v_add_f16_e32 v154, v77, v154
	v_mov_b32_e32 v152, 0xbacd
	v_fmamk_f16 v172, v78, 0x3bb2, v160
	v_fma_f16 v159, v142, 0xb461, -v159
	v_pk_add_f16 v147, v148, v147
	v_fmamk_f16 v148, v142, 0xb8d2, v162
	v_add_f16_sdwa v156, v77, v156 dst_sel:DWORD dst_unused:UNUSED_PAD src0_sel:WORD_1 src1_sel:DWORD
	v_add_f16_e32 v171, v77, v171
	v_add_f16_sdwa v172, v77, v172 dst_sel:DWORD dst_unused:UNUSED_PAD src0_sel:WORD_1 src1_sel:DWORD
	v_add_f16_e32 v159, v77, v159
	v_add_f16_e32 v173, v77, v148
	v_pk_add_f16 v148, v89, v92 neg_lo:[0,1] neg_hi:[0,1]
	v_fmac_f16_e32 v160, 0xbbb2, v78
	v_mov_b32_e32 v153, 0xb836
	v_fma_f16 v162, v142, 0xb8d2, -v162
	v_mul_f16_sdwa v180, v142, v152 dst_sel:DWORD dst_unused:UNUSED_PAD src0_sel:WORD_1 src1_sel:DWORD
	v_pk_mul_f16 v92, 0xb964, v148 op_sel_hi:[0,1]
	v_mul_f16_sdwa v163, v148, v157 dst_sel:DWORD dst_unused:UNUSED_PAD src0_sel:WORD_1 src1_sel:DWORD
	v_fmamk_f16 v187, v148, 0x3bf7, v184
	v_fmac_f16_e32 v184, 0xbbf7, v148
	v_add_f16_sdwa v160, v77, v160 dst_sel:DWORD dst_unused:UNUSED_PAD src0_sel:WORD_1 src1_sel:DWORD
	v_pk_fma_f16 v89, 0x39e9, v151, v92 op_sel:[0,0,1] op_sel_hi:[0,1,0]
	v_pk_fma_f16 v92, 0x39e9, v151, v92 op_sel:[0,0,1] op_sel_hi:[0,1,0] neg_lo:[0,0,1] neg_hi:[0,0,1]
	v_fmamk_f16 v186, v151, 0x2de8, v163
	v_add_f16_e32 v165, v187, v165
	v_mul_f16_sdwa v187, v151, v149 dst_sel:DWORD dst_unused:UNUSED_PAD src0_sel:WORD_1 src1_sel:DWORD
	v_add_f16_e32 v175, v184, v175
	v_bfi_b32 v185, 0xffff, v89, v92
	v_add_f16_e32 v164, v186, v164
	v_mul_f16_sdwa v186, v148, v150 dst_sel:DWORD dst_unused:UNUSED_PAD src0_sel:WORD_1 src1_sel:DWORD
	v_fmamk_f16 v184, v148, 0x3a62, v187
	v_fmac_f16_e32 v187, 0xba62, v148
	v_pk_add_f16 v185, v185, v161
	v_fma_f16 v161, v151, 0x2de8, -v163
	v_fmamk_f16 v188, v151, 0xb8d2, v186
	v_mov_b32_e32 v163, 0xbbdd
	v_fma_f16 v186, v151, 0xb8d2, -v186
	v_add_f16_e32 v168, v184, v168
	v_add_f16_e32 v174, v161, v174
	v_mov_b32_e32 v161, 0xb1e1
	v_add_f16_e32 v167, v188, v167
	v_mul_f16_sdwa v184, v151, v163 dst_sel:DWORD dst_unused:UNUSED_PAD src0_sel:WORD_1 src1_sel:DWORD
	v_add_f16_e32 v176, v186, v176
	v_mov_b32_e32 v186, 0x3836
	v_mul_f16_sdwa v188, v148, v161 dst_sel:DWORD dst_unused:UNUSED_PAD src0_sel:WORD_1 src1_sel:DWORD
	v_add_f16_e32 v177, v187, v177
	v_fmamk_f16 v190, v148, 0x31e1, v184
	v_fmac_f16_e32 v184, 0xb1e1, v148
	v_mul_f16_sdwa v179, v78, v153 dst_sel:DWORD dst_unused:UNUSED_PAD src0_sel:WORD_1 src1_sel:DWORD
	v_fmamk_f16 v189, v151, 0xbbdd, v188
	v_fma_f16 v187, v151, 0xbbdd, -v188
	v_mul_f16_sdwa v188, v148, v186 dst_sel:DWORD dst_unused:UNUSED_PAD src0_sel:WORD_1 src1_sel:DWORD
	v_add_f16_e32 v170, v190, v170
	v_mov_b32_e32 v190, 0x3bb2
	v_add_f16_e32 v169, v189, v169
	v_mul_f16_sdwa v189, v151, v152 dst_sel:DWORD dst_unused:UNUSED_PAD src0_sel:WORD_1 src1_sel:DWORD
	v_add_f16_e32 v187, v187, v154
	v_fmamk_f16 v154, v151, 0xbacd, v188
	v_add_f16_e32 v184, v184, v156
	v_fma_f16 v156, v151, 0xbacd, -v188
	v_fmamk_f16 v191, v148, 0xb836, v189
	v_mul_f16_sdwa v188, v151, v145 dst_sel:DWORD dst_unused:UNUSED_PAD src0_sel:WORD_1 src1_sel:DWORD
	v_add_f16_e32 v171, v154, v171
	v_mul_f16_sdwa v154, v148, v190 dst_sel:DWORD dst_unused:UNUSED_PAD src0_sel:WORD_1 src1_sel:DWORD
	v_add_f16_e32 v162, v77, v162
	v_add_f16_e32 v172, v191, v172
	;; [unrolled: 1-line block ×3, first 2 shown]
	v_fmac_f16_e32 v189, 0x3836, v148
	v_fmamk_f16 v156, v151, 0xb461, v154
	v_mov_b32_e32 v159, 0x3b29
	v_fmamk_f16 v192, v148, 0xbbb2, v188
	v_fma_f16 v154, v151, 0xb461, -v154
	v_fmamk_f16 v181, v142, 0xbacd, v179
	v_add_f16_e32 v160, v189, v160
	v_mul_f16_sdwa v189, v148, v159 dst_sel:DWORD dst_unused:UNUSED_PAD src0_sel:WORD_1 src1_sel:DWORD
	v_add_f16_e32 v178, v192, v178
	v_add_f16_e32 v192, v154, v162
	v_pk_add_f16 v154, v90, v91 neg_lo:[0,1] neg_hi:[0,1]
	v_fmamk_f16 v182, v78, 0x3836, v180
	v_add_f16_e32 v181, v77, v181
	v_fma_f16 v179, v142, 0xbacd, -v179
	v_add_f16_e32 v173, v156, v173
	v_fmac_f16_e32 v188, 0x3bb2, v148
	v_fmamk_f16 v162, v151, 0x3722, v189
	v_mul_f16_sdwa v193, v151, v143 dst_sel:DWORD dst_unused:UNUSED_PAD src0_sel:WORD_1 src1_sel:DWORD
	v_pk_add_f16 v156, v91, v90
	v_pk_mul_f16 v91, 0xbb29, v154 op_sel_hi:[0,1]
	v_add_f16_sdwa v182, v77, v182 dst_sel:DWORD dst_unused:UNUSED_PAD src0_sel:WORD_1 src1_sel:DWORD
	v_add_f16_e32 v179, v77, v179
	v_add_f16_e32 v183, v188, v183
	;; [unrolled: 1-line block ×3, first 2 shown]
	v_fmamk_f16 v162, v148, 0xbb29, v193
	v_fma_f16 v188, v151, 0x3722, -v189
	v_pk_fma_f16 v90, 0x3722, v156, v91 op_sel:[0,0,1] op_sel_hi:[0,1,0]
	v_pk_fma_f16 v91, 0x3722, v156, v91 op_sel:[0,0,1] op_sel_hi:[0,1,0] neg_lo:[0,0,1] neg_hi:[0,0,1]
	v_mul_f16_sdwa v189, v154, v150 dst_sel:DWORD dst_unused:UNUSED_PAD src0_sel:WORD_1 src1_sel:DWORD
	v_fmac_f16_e32 v180, 0xb836, v78
	v_add_f16_e32 v182, v162, v182
	v_add_f16_e32 v179, v188, v179
	v_bfi_b32 v162, 0xffff, v90, v91
	v_fmamk_f16 v188, v156, 0xb8d2, v189
	v_mul_f16_sdwa v194, v156, v149 dst_sel:DWORD dst_unused:UNUSED_PAD src0_sel:WORD_1 src1_sel:DWORD
	v_mov_b32_e32 v195, 0x31e1
	v_add_f16_sdwa v180, v77, v180 dst_sel:DWORD dst_unused:UNUSED_PAD src0_sel:WORD_1 src1_sel:DWORD
	v_fmac_f16_e32 v193, 0x3b29, v148
	v_pk_add_f16 v185, v162, v185
	v_add_f16_e32 v188, v188, v164
	v_fmamk_f16 v162, v154, 0x3a62, v194
	v_mul_f16_sdwa v164, v154, v195 dst_sel:DWORD dst_unused:UNUSED_PAD src0_sel:WORD_1 src1_sel:DWORD
	v_add_f16_e32 v180, v193, v180
	v_mul_f16_sdwa v193, v156, v163 dst_sel:DWORD dst_unused:UNUSED_PAD src0_sel:WORD_1 src1_sel:DWORD
	v_fmac_f16_e32 v194, 0xba62, v154
	v_add_f16_e32 v165, v162, v165
	v_fmamk_f16 v162, v156, 0xbbdd, v164
	v_fma_f16 v164, v156, 0xbbdd, -v164
	v_fma_f16 v189, v156, 0xb8d2, -v189
	v_fmamk_f16 v195, v154, 0xb1e1, v193
	v_add_f16_e32 v175, v194, v175
	v_add_f16_e32 v167, v162, v167
	v_mul_f16_sdwa v162, v154, v190 dst_sel:DWORD dst_unused:UNUSED_PAD src0_sel:WORD_1 src1_sel:DWORD
	v_mul_f16_sdwa v194, v156, v145 dst_sel:DWORD dst_unused:UNUSED_PAD src0_sel:WORD_1 src1_sel:DWORD
	v_add_f16_e32 v176, v164, v176
	v_fmac_f16_e32 v193, 0x31e1, v154
	v_mov_b32_e32 v164, 0x3964
	v_add_f16_e32 v174, v189, v174
	v_add_f16_e32 v189, v195, v168
	v_fmamk_f16 v168, v156, 0xb461, v162
	v_fmamk_f16 v195, v154, 0xbbb2, v194
	v_fma_f16 v162, v156, 0xb461, -v162
	v_add_f16_e32 v177, v193, v177
	v_mul_f16_sdwa v193, v154, v164 dst_sel:DWORD dst_unused:UNUSED_PAD src0_sel:WORD_1 src1_sel:DWORD
	v_mul_f16_sdwa v196, v156, v146 dst_sel:DWORD dst_unused:UNUSED_PAD src0_sel:WORD_1 src1_sel:DWORD
	v_add_f16_e32 v170, v195, v170
	v_add_f16_e32 v187, v162, v187
	v_mov_b32_e32 v195, 0xb5c8
	v_fmamk_f16 v162, v156, 0x39e9, v193
	v_add_f16_e32 v169, v168, v169
	v_fmac_f16_e32 v194, 0x3bb2, v154
	v_mov_b32_e32 v168, 0x3b76
	v_fmamk_f16 v197, v154, 0xb964, v196
	v_add_f16_e32 v171, v162, v171
	v_mul_f16_sdwa v162, v154, v195 dst_sel:DWORD dst_unused:UNUSED_PAD src0_sel:WORD_1 src1_sel:DWORD
	v_fma_f16 v193, v156, 0x39e9, -v193
	v_fmac_f16_e32 v196, 0x3964, v154
	v_add_f16_e32 v184, v194, v184
	v_mul_f16_sdwa v194, v156, v168 dst_sel:DWORD dst_unused:UNUSED_PAD src0_sel:WORD_1 src1_sel:DWORD
	v_fmamk_f16 v198, v156, 0x3b76, v162
	v_add_f16_e32 v191, v193, v191
	v_add_f16_e32 v193, v196, v160
	v_pk_add_f16 v160, v85, v88 neg_lo:[0,1] neg_hi:[0,1]
	v_fmamk_f16 v199, v154, 0x35c8, v194
	v_add_f16_e32 v173, v198, v173
	v_mul_f16_sdwa v196, v154, v157 dst_sel:DWORD dst_unused:UNUSED_PAD src0_sel:WORD_1 src1_sel:DWORD
	v_fma_f16 v198, v156, 0x3b76, -v162
	v_pk_add_f16 v162, v88, v85
	v_pk_mul_f16 v88, 0xbbf7, v160 op_sel_hi:[0,1]
	v_add_f16_e32 v172, v197, v172
	v_add_f16_e32 v178, v199, v178
	v_mul_f16_sdwa v197, v156, v155 dst_sel:DWORD dst_unused:UNUSED_PAD src0_sel:WORD_1 src1_sel:DWORD
	v_fmac_f16_e32 v194, 0xb5c8, v154
	v_fmamk_f16 v199, v156, 0x2de8, v196
	v_add_f16_e32 v192, v198, v192
	v_pk_fma_f16 v85, 0x2de8, v162, v88 op_sel:[0,0,1] op_sel_hi:[0,1,0]
	v_pk_fma_f16 v88, 0x2de8, v162, v88 op_sel:[0,0,1] op_sel_hi:[0,1,0] neg_lo:[0,0,1] neg_hi:[0,0,1]
	v_mul_f16_sdwa v198, v162, v163 dst_sel:DWORD dst_unused:UNUSED_PAD src0_sel:WORD_1 src1_sel:DWORD
	v_fmamk_f16 v200, v154, 0x3bf7, v197
	v_add_f16_e32 v183, v194, v183
	v_add_f16_e32 v181, v199, v181
	v_mul_f16_sdwa v194, v160, v161 dst_sel:DWORD dst_unused:UNUSED_PAD src0_sel:WORD_1 src1_sel:DWORD
	v_fma_f16 v196, v156, 0x2de8, -v196
	v_fmac_f16_e32 v197, 0xbbf7, v154
	v_bfi_b32 v199, 0xffff, v85, v88
	v_fmamk_f16 v201, v160, 0x31e1, v198
	v_add_f16_e32 v182, v200, v182
	v_fmamk_f16 v200, v162, 0xbbdd, v194
	v_add_f16_e32 v179, v196, v179
	v_add_f16_e32 v180, v197, v180
	v_pk_add_f16 v185, v199, v185
	v_add_f16_e32 v196, v201, v165
	v_mul_f16_sdwa v165, v160, v190 dst_sel:DWORD dst_unused:UNUSED_PAD src0_sel:WORD_1 src1_sel:DWORD
	v_fma_f16 v194, v162, 0xbbdd, -v194
	v_fmac_f16_e32 v198, 0xb1e1, v160
	v_mov_b32_e32 v197, 0x35c8
	v_mul_f16_sdwa v199, v162, v145 dst_sel:DWORD dst_unused:UNUSED_PAD src0_sel:WORD_1 src1_sel:DWORD
	v_add_f16_e32 v188, v200, v188
	v_fmamk_f16 v200, v162, 0xb461, v165
	v_add_f16_e32 v174, v194, v174
	v_add_f16_e32 v175, v198, v175
	v_mul_f16_sdwa v194, v160, v197 dst_sel:DWORD dst_unused:UNUSED_PAD src0_sel:WORD_1 src1_sel:DWORD
	v_fmamk_f16 v198, v160, 0xbbb2, v199
	v_add_f16_e32 v200, v200, v167
	v_fma_f16 v165, v162, 0xb461, -v165
	v_fmac_f16_e32 v199, 0x3bb2, v160
	v_fmamk_f16 v167, v162, 0x3b76, v194
	v_add_f16_e32 v189, v198, v189
	v_mul_f16_sdwa v198, v162, v168 dst_sel:DWORD dst_unused:UNUSED_PAD src0_sel:WORD_1 src1_sel:DWORD
	v_add_f16_e32 v176, v165, v176
	v_add_f16_e32 v177, v199, v177
	;; [unrolled: 1-line block ×3, first 2 shown]
	v_mul_f16_sdwa v165, v160, v166 dst_sel:DWORD dst_unused:UNUSED_PAD src0_sel:WORD_1 src1_sel:DWORD
	v_fmamk_f16 v167, v160, 0xb5c8, v198
	v_mul_f16_sdwa v199, v162, v143 dst_sel:DWORD dst_unused:UNUSED_PAD src0_sel:WORD_1 src1_sel:DWORD
	v_fma_f16 v194, v162, 0x3b76, -v194
	v_fmac_f16_e32 v198, 0x35c8, v160
	v_fmamk_f16 v201, v162, 0x3722, v165
	v_add_f16_e32 v170, v167, v170
	v_fmamk_f16 v167, v160, 0x3b29, v199
	v_add_f16_e32 v187, v194, v187
	v_mul_f16_sdwa v194, v160, v153 dst_sel:DWORD dst_unused:UNUSED_PAD src0_sel:WORD_1 src1_sel:DWORD
	v_fma_f16 v165, v162, 0x3722, -v165
	v_add_f16_e32 v184, v198, v184
	v_add_f16_e32 v171, v201, v171
	;; [unrolled: 1-line block ×3, first 2 shown]
	v_mul_f16_sdwa v198, v162, v152 dst_sel:DWORD dst_unused:UNUSED_PAD src0_sel:WORD_1 src1_sel:DWORD
	v_fmac_f16_e32 v199, 0xbb29, v160
	v_fmamk_f16 v167, v162, 0xbacd, v194
	v_mov_b32_e32 v201, 0x3a62
	v_add_f16_e32 v191, v165, v191
	v_pk_add_f16 v165, v86, v87 neg_lo:[0,1] neg_hi:[0,1]
	v_fmamk_f16 v202, v160, 0x3836, v198
	v_add_f16_e32 v193, v199, v193
	v_add_f16_e32 v173, v167, v173
	v_mul_f16_sdwa v199, v160, v201 dst_sel:DWORD dst_unused:UNUSED_PAD src0_sel:WORD_1 src1_sel:DWORD
	v_fma_f16 v194, v162, 0xbacd, -v194
	v_fmac_f16_e32 v198, 0xb836, v160
	v_mul_f16_sdwa v203, v162, v149 dst_sel:DWORD dst_unused:UNUSED_PAD src0_sel:WORD_1 src1_sel:DWORD
	v_pk_add_f16 v167, v87, v86
	v_pk_mul_f16 v87, 0xbbb2, v165 op_sel_hi:[0,1]
	v_add_f16_e32 v192, v194, v192
	v_add_f16_e32 v183, v198, v183
	v_fmamk_f16 v194, v160, 0xba62, v203
	v_fma_f16 v198, v162, 0xb8d2, -v199
	v_pk_fma_f16 v86, 0xb461, v167, v87 op_sel:[0,0,1] op_sel_hi:[0,1,0]
	v_pk_fma_f16 v87, 0xb461, v167, v87 op_sel:[0,0,1] op_sel_hi:[0,1,0] neg_lo:[0,0,1] neg_hi:[0,0,1]
	v_mul_f16_sdwa v186, v165, v186 dst_sel:DWORD dst_unused:UNUSED_PAD src0_sel:WORD_1 src1_sel:DWORD
	v_add_f16_e32 v178, v202, v178
	v_fmamk_f16 v202, v162, 0xb8d2, v199
	v_add_f16_e32 v182, v194, v182
	v_fmac_f16_e32 v203, 0x3a62, v160
	v_bfi_b32 v194, 0xffff, v86, v87
	v_add_f16_e32 v179, v198, v179
	v_fmamk_f16 v198, v167, 0xbacd, v186
	v_mul_f16_sdwa v199, v167, v152 dst_sel:DWORD dst_unused:UNUSED_PAD src0_sel:WORD_1 src1_sel:DWORD
	v_add_f16_e32 v180, v203, v180
	v_pk_add_f16 v185, v194, v185
	v_mul_f16_sdwa v194, v165, v164 dst_sel:DWORD dst_unused:UNUSED_PAD src0_sel:WORD_1 src1_sel:DWORD
	v_add_f16_e32 v188, v198, v188
	v_fmamk_f16 v198, v165, 0xb836, v199
	v_mul_f16_sdwa v203, v167, v146 dst_sel:DWORD dst_unused:UNUSED_PAD src0_sel:WORD_1 src1_sel:DWORD
	v_add_f16_e32 v181, v202, v181
	v_fmac_f16_e32 v199, 0x3836, v165
	v_fmamk_f16 v202, v167, 0x39e9, v194
	v_add_f16_e32 v196, v198, v196
	v_fmamk_f16 v198, v165, 0xb964, v203
	v_mul_f16_sdwa v166, v165, v166 dst_sel:DWORD dst_unused:UNUSED_PAD src0_sel:WORD_1 src1_sel:DWORD
	v_fma_f16 v194, v167, 0x39e9, -v194
	v_fma_f16 v186, v167, 0xbacd, -v186
	v_add_f16_e32 v175, v199, v175
	v_mul_f16_sdwa v199, v167, v143 dst_sel:DWORD dst_unused:UNUSED_PAD src0_sel:WORD_1 src1_sel:DWORD
	v_add_f16_e32 v189, v198, v189
	v_fmamk_f16 v198, v167, 0x3722, v166
	v_add_f16_e32 v176, v194, v176
	v_mul_f16_sdwa v194, v165, v161 dst_sel:DWORD dst_unused:UNUSED_PAD src0_sel:WORD_1 src1_sel:DWORD
	v_add_f16_e32 v174, v186, v174
	v_add_f16_e32 v186, v202, v200
	v_fmamk_f16 v200, v165, 0x3b29, v199
	v_add_f16_e32 v169, v198, v169
	v_fmac_f16_e32 v199, 0xbb29, v165
	v_fmamk_f16 v198, v167, 0xbbdd, v194
	v_mul_f16_sdwa v202, v167, v163 dst_sel:DWORD dst_unused:UNUSED_PAD src0_sel:WORD_1 src1_sel:DWORD
	v_add_f16_e32 v170, v200, v170
	v_fma_f16 v166, v167, 0x3722, -v166
	v_mov_b32_e32 v200, 0x3bf7
	v_add_f16_e32 v184, v199, v184
	v_add_f16_e32 v171, v198, v171
	v_fmamk_f16 v198, v165, 0x31e1, v202
	v_mul_f16_sdwa v199, v167, v155 dst_sel:DWORD dst_unused:UNUSED_PAD src0_sel:WORD_1 src1_sel:DWORD
	v_fmac_f16_e32 v203, 0x3964, v165
	v_add_f16_e32 v166, v166, v187
	v_mul_f16_sdwa v187, v165, v200 dst_sel:DWORD dst_unused:UNUSED_PAD src0_sel:WORD_1 src1_sel:DWORD
	v_add_f16_e32 v172, v198, v172
	v_fmamk_f16 v198, v165, 0xbbf7, v199
	v_add_f16_e32 v177, v203, v177
	v_fma_f16 v194, v167, 0xbbdd, -v194
	v_fmamk_f16 v203, v167, 0x2de8, v187
	v_fmac_f16_e32 v202, 0xb1e1, v165
	v_add_f16_e32 v178, v198, v178
	v_pk_add_f16 v198, v81, v84 neg_lo:[0,1] neg_hi:[0,1]
	v_add_f16_e32 v191, v194, v191
	v_add_f16_e32 v173, v203, v173
	v_mul_f16_sdwa v194, v165, v195 dst_sel:DWORD dst_unused:UNUSED_PAD src0_sel:WORD_1 src1_sel:DWORD
	v_fma_f16 v187, v167, 0x2de8, -v187
	v_fmac_f16_e32 v199, 0x3bf7, v165
	v_mul_f16_sdwa v203, v167, v168 dst_sel:DWORD dst_unused:UNUSED_PAD src0_sel:WORD_1 src1_sel:DWORD
	v_pk_add_f16 v81, v84, v81
	v_pk_mul_f16 v84, 0xba62, v198 op_sel_hi:[0,1]
	v_add_f16_e32 v193, v202, v193
	v_fmamk_f16 v202, v167, 0x3b76, v194
	v_add_f16_e32 v187, v187, v192
	v_add_f16_e32 v183, v199, v183
	v_fmamk_f16 v192, v165, 0x35c8, v203
	v_pk_fma_f16 v199, 0xb8d2, v81, v84 op_sel:[0,0,1] op_sel_hi:[0,1,0]
	v_pk_fma_f16 v84, 0xb8d2, v81, v84 op_sel:[0,0,1] op_sel_hi:[0,1,0] neg_lo:[0,0,1] neg_hi:[0,0,1]
	v_mul_f16_sdwa v190, v198, v190 dst_sel:DWORD dst_unused:UNUSED_PAD src0_sel:WORD_1 src1_sel:DWORD
	v_fmac_f16_e32 v203, 0xb5c8, v165
	v_add_f16_e32 v181, v202, v181
	v_fma_f16 v194, v167, 0x3b76, -v194
	v_add_f16_e32 v182, v192, v182
	v_bfi_b32 v192, 0xffff, v199, v84
	v_fmamk_f16 v202, v81, 0xb461, v190
	v_add_f16_e32 v180, v203, v180
	v_fma_f16 v190, v81, 0xb461, -v190
	v_mul_f16_sdwa v203, v81, v168 dst_sel:DWORD dst_unused:UNUSED_PAD src0_sel:WORD_1 src1_sel:DWORD
	v_add_f16_e32 v179, v194, v179
	v_mul_f16_sdwa v194, v81, v145 dst_sel:DWORD dst_unused:UNUSED_PAD src0_sel:WORD_1 src1_sel:DWORD
	v_pk_add_f16 v185, v192, v185
	v_mul_f16_sdwa v192, v198, v195 dst_sel:DWORD dst_unused:UNUSED_PAD src0_sel:WORD_1 src1_sel:DWORD
	v_add_f16_e32 v174, v190, v174
	v_fmamk_f16 v190, v198, 0x35c8, v203
	v_add_f16_e32 v188, v202, v188
	v_fmamk_f16 v202, v198, 0xbbb2, v194
	v_fmac_f16_e32 v194, 0x3bb2, v198
	v_fmamk_f16 v204, v81, 0x3b76, v192
	v_fma_f16 v192, v81, 0x3b76, -v192
	v_add_f16_e32 v189, v190, v189
	v_mul_f16_sdwa v190, v81, v152 dst_sel:DWORD dst_unused:UNUSED_PAD src0_sel:WORD_1 src1_sel:DWORD
	v_add_f16_e32 v175, v194, v175
	v_mul_f16_sdwa v194, v198, v153 dst_sel:DWORD dst_unused:UNUSED_PAD src0_sel:WORD_1 src1_sel:DWORD
	;; [unrolled: 2-line block ×3, first 2 shown]
	v_fmamk_f16 v200, v198, 0x3836, v190
	v_add_f16_e32 v196, v202, v196
	v_fmamk_f16 v202, v81, 0xbacd, v194
	v_fma_f16 v194, v81, 0xbacd, -v194
	v_fmac_f16_e32 v190, 0xb836, v198
	v_add_f16_e32 v170, v200, v170
	v_mul_f16_sdwa v200, v81, v155 dst_sel:DWORD dst_unused:UNUSED_PAD src0_sel:WORD_1 src1_sel:DWORD
	v_add_f16_e32 v169, v202, v169
	v_add_f16_e32 v166, v194, v166
	;; [unrolled: 1-line block ×3, first 2 shown]
	v_mul_f16_sdwa v194, v81, v146 dst_sel:DWORD dst_unused:UNUSED_PAD src0_sel:WORD_1 src1_sel:DWORD
	v_fmamk_f16 v190, v198, 0xbbf7, v200
	v_fmamk_f16 v202, v81, 0x2de8, v192
	v_mul_f16_sdwa v158, v198, v158 dst_sel:DWORD dst_unused:UNUSED_PAD src0_sel:WORD_1 src1_sel:DWORD
	v_fma_f16 v192, v81, 0x2de8, -v192
	v_fmac_f16_e32 v200, 0x3bf7, v198
	v_add_f16_e32 v172, v190, v172
	v_fmamk_f16 v190, v198, 0x3964, v194
	v_add_f16_e32 v171, v202, v171
	v_fmamk_f16 v202, v81, 0x39e9, v158
	v_add_f16_e32 v191, v192, v191
	v_add_f16_e32 v192, v200, v193
	v_mul_f16_sdwa v193, v198, v161 dst_sel:DWORD dst_unused:UNUSED_PAD src0_sel:WORD_1 src1_sel:DWORD
	v_add_f16_e32 v178, v190, v178
	v_pk_add_f16 v190, v82, v83 neg_lo:[0,1] neg_hi:[0,1]
	v_add_f16_e32 v173, v202, v173
	v_fma_f16 v158, v81, 0x39e9, -v158
	v_fmac_f16_e32 v194, 0xb964, v198
	v_fmamk_f16 v200, v81, 0xbbdd, v193
	v_mul_f16_sdwa v202, v81, v163 dst_sel:DWORD dst_unused:UNUSED_PAD src0_sel:WORD_1 src1_sel:DWORD
	v_pk_add_f16 v82, v83, v82
	v_pk_mul_f16 v83, 0xb836, v190 op_sel_hi:[0,1]
	v_fmac_f16_e32 v203, 0xb5c8, v198
	v_add_f16_e32 v158, v158, v187
	v_add_f16_e32 v183, v194, v183
	;; [unrolled: 1-line block ×3, first 2 shown]
	v_fmamk_f16 v187, v198, 0x31e1, v202
	v_pk_fma_f16 v194, 0xbacd, v82, v83 op_sel:[0,0,1] op_sel_hi:[0,1,0]
	v_pk_fma_f16 v83, 0xbacd, v82, v83 op_sel:[0,0,1] op_sel_hi:[0,1,0] neg_lo:[0,0,1] neg_hi:[0,0,1]
	v_mul_f16_sdwa v200, v190, v159 dst_sel:DWORD dst_unused:UNUSED_PAD src0_sel:WORD_1 src1_sel:DWORD
	v_fma_f16 v193, v81, 0xbbdd, -v193
	v_add_f16_e32 v177, v203, v177
	v_add_f16_e32 v182, v187, v182
	v_bfi_b32 v187, 0xffff, v194, v83
	v_fmamk_f16 v203, v82, 0x3722, v200
	v_add_f16_e32 v179, v193, v179
	v_mul_f16_sdwa v193, v82, v143 dst_sel:DWORD dst_unused:UNUSED_PAD src0_sel:WORD_1 src1_sel:DWORD
	v_mul_f16_sdwa v155, v82, v155 dst_sel:DWORD dst_unused:UNUSED_PAD src0_sel:WORD_1 src1_sel:DWORD
	v_pk_add_f16 v185, v187, v185
	v_add_f16_e32 v187, v203, v188
	v_fmac_f16_e32 v202, 0xb1e1, v198
	v_fmamk_f16 v188, v190, 0xbb29, v193
	v_fmac_f16_e32 v193, 0x3b29, v190
	v_mul_f16_sdwa v157, v190, v157 dst_sel:DWORD dst_unused:UNUSED_PAD src0_sel:WORD_1 src1_sel:DWORD
	v_fma_f16 v200, v82, 0x3722, -v200
	v_add_f16_e32 v180, v202, v180
	v_add_f16_e32 v188, v188, v196
	;; [unrolled: 1-line block ×3, first 2 shown]
	v_fmamk_f16 v193, v190, 0x3bf7, v155
	v_fmac_f16_e32 v155, 0xbbf7, v190
	v_fmamk_f16 v202, v82, 0x2de8, v157
	v_fma_f16 v157, v82, 0x2de8, -v157
	v_mul_f16_sdwa v196, v190, v201 dst_sel:DWORD dst_unused:UNUSED_PAD src0_sel:WORD_1 src1_sel:DWORD
	v_add_f16_e32 v189, v193, v189
	v_mul_f16_sdwa v193, v82, v149 dst_sel:DWORD dst_unused:UNUSED_PAD src0_sel:WORD_1 src1_sel:DWORD
	v_add_f16_e32 v155, v155, v177
	v_add_f16_e32 v157, v157, v176
	v_mul_f16_sdwa v176, v190, v195 dst_sel:DWORD dst_unused:UNUSED_PAD src0_sel:WORD_1 src1_sel:DWORD
	v_add_f16_e32 v174, v200, v174
	v_fmamk_f16 v177, v190, 0xba62, v193
	v_fmac_f16_e32 v193, 0x3a62, v190
	v_fmamk_f16 v200, v82, 0xb8d2, v196
	v_fma_f16 v195, v82, 0xb8d2, -v196
	v_fmamk_f16 v196, v82, 0x3b76, v176
	v_add_f16_e32 v170, v177, v170
	v_mul_f16_sdwa v177, v82, v168 dst_sel:DWORD dst_unused:UNUSED_PAD src0_sel:WORD_1 src1_sel:DWORD
	v_add_f16_e32 v184, v193, v184
	v_mul_f16_sdwa v161, v190, v161 dst_sel:DWORD dst_unused:UNUSED_PAD src0_sel:WORD_1 src1_sel:DWORD
	v_mul_f16_sdwa v163, v82, v163 dst_sel:DWORD dst_unused:UNUSED_PAD src0_sel:WORD_1 src1_sel:DWORD
	v_fma_f16 v176, v82, 0x3b76, -v176
	v_fmamk_f16 v193, v190, 0x35c8, v177
	v_fmac_f16_e32 v177, 0xb5c8, v190
	v_add_f16_e32 v166, v195, v166
	v_fmamk_f16 v195, v82, 0xbbdd, v161
	v_add_f16_e32 v176, v176, v191
	v_add_f16_e32 v172, v193, v172
	v_fmamk_f16 v193, v190, 0x31e1, v163
	v_add_f16_e32 v177, v177, v192
	v_mul_f16_sdwa v191, v190, v164 dst_sel:DWORD dst_unused:UNUSED_PAD src0_sel:WORD_1 src1_sel:DWORD
	v_pk_add_f16 v192, v79, v80 neg_lo:[0,1] neg_hi:[0,1]
	v_add_f16_e32 v173, v195, v173
	v_add_f16_e32 v178, v193, v178
	v_fma_f16 v161, v82, 0xbbdd, -v161
	v_fmac_f16_e32 v163, 0xb1e1, v190
	v_fmamk_f16 v193, v82, 0x39e9, v191
	v_mul_f16_sdwa v195, v82, v146 dst_sel:DWORD dst_unused:UNUSED_PAD src0_sel:WORD_1 src1_sel:DWORD
	v_pk_add_f16 v79, v80, v79
	v_pk_mul_f16 v80, 0xb1e1, v192 op_sel_hi:[0,1]
	v_add_f16_e32 v158, v161, v158
	v_add_f16_e32 v161, v163, v183
	v_add_f16_e32 v163, v193, v181
	v_fmamk_f16 v181, v190, 0xb964, v195
	v_pk_fma_f16 v183, 0xbbdd, v79, v80 op_sel:[0,0,1] op_sel_hi:[0,1,0]
	v_pk_fma_f16 v80, 0xbbdd, v79, v80 op_sel:[0,0,1] op_sel_hi:[0,1,0] neg_lo:[0,0,1] neg_hi:[0,0,1]
	v_mul_f16_sdwa v193, v192, v197 dst_sel:DWORD dst_unused:UNUSED_PAD src0_sel:WORD_1 src1_sel:DWORD
	v_add_f16_e32 v171, v196, v171
	v_add_f16_e32 v181, v181, v182
	v_mul_f16_sdwa v168, v79, v168 dst_sel:DWORD dst_unused:UNUSED_PAD src0_sel:WORD_1 src1_sel:DWORD
	v_bfi_b32 v182, 0xffff, v183, v80
	v_fmamk_f16 v196, v79, 0x3b76, v193
	v_fma_f16 v191, v82, 0x39e9, -v191
	v_mul_f16_sdwa v153, v192, v153 dst_sel:DWORD dst_unused:UNUSED_PAD src0_sel:WORD_1 src1_sel:DWORD
	v_mul_f16_sdwa v152, v79, v152 dst_sel:DWORD dst_unused:UNUSED_PAD src0_sel:WORD_1 src1_sel:DWORD
	v_pk_add_f16 v182, v182, v185
	v_add_f16_e32 v185, v196, v187
	v_fmamk_f16 v187, v192, 0xb5c8, v168
	v_fmac_f16_e32 v168, 0x35c8, v192
	v_mul_f16_sdwa v164, v192, v164 dst_sel:DWORD dst_unused:UNUSED_PAD src0_sel:WORD_1 src1_sel:DWORD
	v_add_f16_e32 v169, v200, v169
	v_add_f16_e32 v179, v191, v179
	v_fma_f16 v191, v79, 0x3b76, -v193
	v_fmamk_f16 v193, v79, 0xbacd, v153
	v_add_f16_e32 v187, v187, v188
	v_add_f16_e32 v168, v168, v175
	v_fmamk_f16 v175, v192, 0x3836, v152
	v_fma_f16 v153, v79, 0xbacd, -v153
	v_fmac_f16_e32 v152, 0xb836, v192
	v_mul_f16_sdwa v146, v79, v146 dst_sel:DWORD dst_unused:UNUSED_PAD src0_sel:WORD_1 src1_sel:DWORD
	v_fmamk_f16 v188, v79, 0x39e9, v164
	v_mul_f16_sdwa v150, v192, v150 dst_sel:DWORD dst_unused:UNUSED_PAD src0_sel:WORD_1 src1_sel:DWORD
	v_add_f16_e32 v186, v204, v186
	v_add_f16_e32 v153, v153, v157
	;; [unrolled: 1-line block ×3, first 2 shown]
	v_fmamk_f16 v155, v192, 0xb964, v146
	v_add_f16_e32 v157, v188, v169
	v_fma_f16 v164, v79, 0x39e9, -v164
	v_fmamk_f16 v169, v79, 0xb8d2, v150
	v_mul_f16_sdwa v149, v79, v149 dst_sel:DWORD dst_unused:UNUSED_PAD src0_sel:WORD_1 src1_sel:DWORD
	v_mul_f16_sdwa v159, v192, v159 dst_sel:DWORD dst_unused:UNUSED_PAD src0_sel:WORD_1 src1_sel:DWORD
	v_add_f16_e32 v186, v202, v186
	v_add_f16_e32 v155, v155, v170
	;; [unrolled: 1-line block ×4, first 2 shown]
	v_fmamk_f16 v169, v192, 0x3a62, v149
	v_mul_f16_sdwa v143, v79, v143 dst_sel:DWORD dst_unused:UNUSED_PAD src0_sel:WORD_1 src1_sel:DWORD
	v_fmamk_f16 v170, v79, 0x3722, v159
	v_fma_f16 v159, v79, 0x3722, -v159
	v_mul_f16_sdwa v144, v192, v144 dst_sel:DWORD dst_unused:UNUSED_PAD src0_sel:WORD_1 src1_sel:DWORD
	v_mul_f16_sdwa v145, v79, v145 dst_sel:DWORD dst_unused:UNUSED_PAD src0_sel:WORD_1 src1_sel:DWORD
	v_add_f16_e32 v186, v193, v186
	v_add_f16_e32 v175, v175, v189
	;; [unrolled: 1-line block ×3, first 2 shown]
	v_fmamk_f16 v171, v192, 0xbb29, v143
	v_fmac_f16_e32 v143, 0x3b29, v192
	v_add_f16_e32 v158, v159, v158
	v_fmamk_f16 v159, v79, 0xb461, v144
	v_fmamk_f16 v172, v192, 0x3bb2, v145
	v_pk_mul_f16 v142, 0xbbdd, v142 op_sel_hi:[0,1]
	v_add_f16_e32 v143, v143, v161
	v_add_f16_e32 v159, v159, v163
	;; [unrolled: 1-line block ×3, first 2 shown]
	v_pack_b32_f16 v163, v186, v175
	v_pack_b32_f16 v172, v185, v187
	s_barrier
	buffer_gl0_inv
	v_pack_b32_f16 v166, v166, v169
	v_pk_fma_f16 v169, 0xb1e1, v78, v142 op_sel:[0,0,1] op_sel_hi:[0,1,0]
	ds_write2_b32 v120, v147, v182 offset1:1
	ds_write2_b32 v120, v172, v163 offset0:2 offset1:3
	v_pk_mul_f16 v147, 0x3b76, v151 op_sel_hi:[0,1]
	v_pack_b32_f16 v155, v157, v155
	v_pk_fma_f16 v78, 0xb1e1, v78, v142 op_sel:[0,0,1] op_sel_hi:[0,1,0] neg_lo:[0,1,0] neg_hi:[0,1,0]
	v_alignbit_b32 v151, s0, v169, 16
	v_pk_mul_f16 v156, 0xbacd, v156 op_sel_hi:[0,1]
	v_pk_fma_f16 v142, 0x35c8, v148, v147 op_sel:[0,0,1] op_sel_hi:[0,1,0]
	v_alignbit_b32 v157, s0, v77, 16
	ds_write2_b32 v120, v155, v166 offset0:4 offset1:5
	v_pack_b32_f16 v155, v159, v161
	v_pk_add_f16 v151, v77, v151
	v_pk_add_f16 v78, v77, v78 op_sel:[1,0] op_sel_hi:[0,1]
	v_alignbit_b32 v159, s0, v142, 16
	v_pk_fma_f16 v147, 0x35c8, v148, v147 op_sel:[0,0,1] op_sel_hi:[0,1,0] neg_lo:[0,1,0] neg_hi:[0,1,0]
	v_pk_fma_f16 v148, 0xb836, v154, v156 op_sel:[0,0,1] op_sel_hi:[0,1,0]
	v_pk_add_f16 v157, v157, v169
	v_pk_mul_f16 v161, 0x39e9, v162 op_sel_hi:[0,1]
	v_pk_add_f16 v151, v159, v151
	v_pk_add_f16 v78, v147, v78
	v_alignbit_b32 v147, s0, v148, 16
	v_pk_fma_f16 v154, 0xb836, v154, v156 op_sel:[0,0,1] op_sel_hi:[0,1,0] neg_lo:[0,1,0] neg_hi:[0,1,0]
	v_pk_fma_f16 v156, 0x3964, v160, v161 op_sel:[0,0,1] op_sel_hi:[0,1,0]
	v_pk_add_f16 v142, v142, v157
	v_pk_mul_f16 v157, 0xb8d2, v167 op_sel_hi:[0,1]
	v_pk_add_f16 v147, v147, v151
	v_bfi_b32 v68, 0xffff, v71, v68
	v_alignbit_b32 v151, s0, v156, 16
	v_pk_add_f16 v78, v154, v78
	v_pk_fma_f16 v159, 0xba62, v165, v157 op_sel:[0,0,1] op_sel_hi:[0,1,0]
	v_pk_fma_f16 v154, 0x3964, v160, v161 op_sel:[0,0,1] op_sel_hi:[0,1,0] neg_lo:[0,1,0] neg_hi:[0,1,0]
	v_pk_add_f16 v142, v148, v142
	v_pk_add_f16 v147, v151, v147
	v_pk_mul_f16 v81, 0x3722, v81 op_sel_hi:[0,1]
	v_alignbit_b32 v148, s0, v159, 16
	v_pk_add_f16 v68, v77, v68
	v_bfi_b32 v77, 0xffff, v92, v89
	v_pk_add_f16 v78, v154, v78
	v_pk_fma_f16 v151, 0xba62, v165, v157 op_sel:[0,0,1] op_sel_hi:[0,1,0] neg_lo:[0,1,0] neg_hi:[0,1,0]
	v_pk_add_f16 v142, v156, v142
	v_pk_add_f16 v71, v148, v147
	v_pk_fma_f16 v147, 0x3b29, v198, v81 op_sel:[0,0,1] op_sel_hi:[0,1,0]
	v_pk_mul_f16 v82, 0xb461, v82 op_sel_hi:[0,1]
	v_pk_add_f16 v68, v77, v68
	v_bfi_b32 v77, 0xffff, v91, v90
	v_pk_add_f16 v78, v151, v78
	v_pk_add_f16 v89, v159, v142
	v_alignbit_b32 v92, s0, v147, 16
	v_pk_fma_f16 v81, 0x3b29, v198, v81 op_sel:[0,0,1] op_sel_hi:[0,1,0] neg_lo:[0,1,0] neg_hi:[0,1,0]
	v_pk_fma_f16 v142, 0xbbb2, v190, v82 op_sel:[0,0,1] op_sel_hi:[0,1,0]
	v_pk_add_f16 v68, v77, v68
	v_bfi_b32 v77, 0xffff, v88, v85
	v_fma_f16 v150, v79, 0xb8d2, -v150
	v_fma_f16 v144, v79, 0xb461, -v144
	v_pk_add_f16 v71, v92, v71
	v_pk_add_f16 v78, v81, v78
	v_alignbit_b32 v81, s0, v142, 16
	v_pk_mul_f16 v79, 0x2de8, v79 op_sel_hi:[0,1]
	v_pk_add_f16 v68, v77, v68
	v_bfi_b32 v77, 0xffff, v87, v86
	v_pk_add_f16 v85, v147, v89
	v_pk_fma_f16 v82, 0xbbb2, v190, v82 op_sel:[0,0,1] op_sel_hi:[0,1,0] neg_lo:[0,1,0] neg_hi:[0,1,0]
	v_pk_add_f16 v71, v81, v71
	v_pk_fma_f16 v81, 0x3bf7, v192, v79 op_sel:[0,0,1] op_sel_hi:[0,1,0]
	v_fmac_f16_e32 v195, 0x3964, v190
	v_pk_add_f16 v68, v77, v68
	v_bfi_b32 v77, 0xffff, v84, v199
	v_pk_add_f16 v78, v82, v78
	v_pk_fma_f16 v79, 0x3bf7, v192, v79 op_sel:[0,0,1] op_sel_hi:[0,1,0] neg_lo:[0,1,0] neg_hi:[0,1,0]
	v_pk_add_f16 v82, v142, v85
	v_alignbit_b32 v85, s0, v81, 16
	v_add_f16_e32 v180, v195, v180
	v_fmac_f16_e32 v145, 0xbbb2, v192
	v_fmac_f16_e32 v146, 0x3964, v192
	;; [unrolled: 1-line block ×3, first 2 shown]
	v_pk_add_f16 v68, v77, v68
	v_bfi_b32 v77, 0xffff, v83, v194
	v_add_f16_e32 v170, v170, v173
	v_add_f16_e32 v171, v171, v178
	v_pk_add_f16 v78, v79, v78
	v_pk_add_f16 v79, v81, v82
	;; [unrolled: 1-line block ×3, first 2 shown]
	v_add_f16_e32 v144, v144, v179
	v_add_f16_e32 v145, v145, v180
	v_add_f16_e32 v146, v146, v184
	v_add_f16_e32 v150, v150, v176
	v_add_f16_e32 v149, v149, v177
	v_add_f16_e32 v174, v191, v174
	v_pk_add_f16 v68, v77, v68
	v_bfi_b32 v77, 0xffff, v80, v183
	v_pack_b32_f16 v160, v170, v171
	v_alignbit_b32 v79, v79, v78, 16
	v_pack_b32_f16 v71, v71, v78
	v_pack_b32_f16 v78, v158, v143
	;; [unrolled: 1-line block ×7, first 2 shown]
	v_pk_add_f16 v68, v77, v68
	ds_write2_b32 v120, v160, v155 offset0:6 offset1:7
	ds_write2_b32 v120, v71, v79 offset0:8 offset1:9
	;; [unrolled: 1-line block ×5, first 2 shown]
	ds_write_b32 v120, v68 offset:64
	s_and_saveexec_b32 s0, vcc_lo
	s_cbranch_execz .LBB0_13
; %bb.12:
	v_add_f16_e32 v68, v72, v66
	v_sub_f16_e32 v80, v73, v28
	v_add_f16_e32 v84, v28, v73
	v_sub_f16_e32 v79, v75, v24
	v_sub_f16_e32 v77, v76, v23
	v_add_f16_e32 v68, v73, v68
	v_sub_f16_e32 v78, v74, v27
	v_add_f16_e32 v83, v27, v74
	v_sub_f16_e32 v81, v72, v113
	v_sub_f16_e32 v71, v70, v26
	v_add_f16_e32 v68, v74, v68
	v_add_f16_e32 v74, v25, v69
	;; [unrolled: 1-line block ×3, first 2 shown]
	v_sub_f16_e32 v72, v65, v67
	v_sub_f16_e32 v86, v136, v121
	v_add_f16_e32 v82, v75, v68
	v_sub_f16_e32 v68, v69, v25
	v_add_f16_e32 v87, v121, v136
	v_mul_f16_e32 v120, 0xb1e1, v81
	v_mul_f16_e32 v88, 0xb836, v86
	v_add_f16_e32 v73, v76, v82
	v_add_f16_e32 v82, v24, v75
	;; [unrolled: 1-line block ×3, first 2 shown]
	v_mul_f16_e32 v89, 0xba62, v86
	v_mul_f16_e32 v90, 0xbbb2, v86
	v_add_f16_e32 v76, v70, v73
	v_add_f16_e32 v73, v26, v70
	v_add_f16_e32 v70, v67, v65
	v_mul_f16_e32 v91, 0xbb29, v86
	v_mul_f16_e32 v92, 0xb964, v86
	v_add_f16_e32 v69, v69, v76
	v_mul_f16_e32 v76, 0xb1e1, v86
	v_fmamk_f16 v142, v85, 0xbacd, v88
	v_fmamk_f16 v143, v85, 0xb461, v90
	v_fmamk_f16 v145, v85, 0x3722, v91
	v_add_f16_e32 v65, v65, v69
	v_mul_f16_e32 v69, 0xbbf7, v86
	v_mul_f16_e32 v86, 0xb5c8, v86
	v_fma_f16 v88, v85, 0xbacd, -v88
	v_fma_f16 v90, v85, 0xb461, -v90
	v_add_f16_e32 v65, v67, v65
	v_fma_f16 v67, v85, 0xbbdd, -v76
	v_fmamk_f16 v144, v85, 0x2de8, v69
	v_fma_f16 v69, v85, 0x2de8, -v69
	v_fmac_f16_e32 v76, 0xbbdd, v85
	v_add_f16_e32 v25, v25, v65
	v_fmamk_f16 v65, v85, 0xb8d2, v89
	v_fma_f16 v89, v85, 0xb8d2, -v89
	v_fma_f16 v91, v85, 0x3722, -v91
	v_fmamk_f16 v146, v85, 0x3b76, v86
	v_add_f16_e32 v25, v26, v25
	v_fmamk_f16 v26, v85, 0x39e9, v92
	v_fma_f16 v92, v85, 0x39e9, -v92
	v_fma_f16 v85, v85, 0x3b76, -v86
	v_add_f16_e32 v86, v66, v67
	v_add_f16_e32 v23, v23, v25
	;; [unrolled: 1-line block ×4, first 2 shown]
	v_mul_f16_e32 v25, 0x35c8, v80
	v_add_f16_e32 v147, v66, v65
	v_add_f16_e32 v23, v24, v23
	;; [unrolled: 1-line block ×7, first 2 shown]
	v_fmamk_f16 v27, v149, 0x3b76, v25
	v_add_f16_e32 v76, v66, v76
	v_add_f16_e32 v142, v66, v142
	;; [unrolled: 1-line block ×4, first 2 shown]
	v_fmamk_f16 v23, v87, 0xbbdd, v120
	v_mul_f16_e32 v28, 0xb836, v78
	v_add_f16_e32 v144, v66, v144
	v_add_f16_e32 v145, v66, v145
	;; [unrolled: 1-line block ×9, first 2 shown]
	v_fmamk_f16 v27, v85, 0xbacd, v28
	v_add_f16_e32 v26, v66, v92
	v_add_f16_e32 v92, v117, v138
	v_mul_f16_e32 v151, 0x3b29, v71
	v_mul_f16_e32 v153, 0xbbb2, v68
	v_add_f16_e32 v23, v27, v23
	v_mul_f16_e32 v27, 0x3964, v79
	v_add_f16_e32 v161, v133, v141
	v_fma_f16 v120, v87, 0xbbdd, -v120
	v_fma_f16 v25, v149, 0x3b76, -v25
	;; [unrolled: 1-line block ×3, first 2 shown]
	v_fmamk_f16 v66, v91, 0x39e9, v27
	v_fma_f16 v27, v91, 0x39e9, -v27
	v_add_f16_e32 v120, v132, v120
	v_mul_f16_e32 v170, 0xb461, v149
	v_mul_f16_e32 v186, 0xbacd, v149
	v_add_f16_e32 v23, v66, v23
	v_mul_f16_e32 v66, 0xba62, v77
	v_add_f16_e32 v25, v25, v120
	v_sub_f16_e32 v120, v134, v118
	v_fmamk_f16 v171, v80, 0xbbb2, v170
	v_fmamk_f16 v187, v80, 0xb836, v186
	;; [unrolled: 1-line block ×3, first 2 shown]
	v_add_f16_e32 v25, v28, v25
	v_fma_f16 v66, v92, 0xb8d2, -v66
	v_mul_f16_e32 v202, 0xbbdd, v149
	v_mul_f16_e32 v218, 0xb8d2, v149
	v_add_f16_e32 v23, v150, v23
	v_add_f16_e32 v150, v118, v134
	;; [unrolled: 1-line block ×3, first 2 shown]
	v_fmamk_f16 v203, v80, 0x31e1, v202
	v_fmamk_f16 v219, v80, 0x3a62, v218
	v_mul_f16_e32 v234, 0x2de8, v149
	v_fmamk_f16 v152, v150, 0x3722, v151
	v_add_f16_e32 v66, v66, v25
	v_add_f16_e32 v136, v136, v132
	;; [unrolled: 1-line block ×3, first 2 shown]
	v_fmamk_f16 v235, v80, 0x3bf7, v234
	v_add_f16_e32 v23, v152, v23
	v_add_f16_e32 v152, v119, v140
	v_add_f16_e32 v136, v137, v136
	v_fmac_f16_e32 v170, 0x3bb2, v80
	v_fmac_f16_e32 v186, 0x3836, v80
	;; [unrolled: 1-line block ×3, first 2 shown]
	v_fmamk_f16 v154, v152, 0xb461, v153
	v_fmac_f16_e32 v218, 0xba62, v80
	v_fmac_f16_e32 v234, 0xbbf7, v80
	v_add_f16_e32 v23, v154, v23
	v_sub_f16_e32 v154, v137, v114
	v_mul_f16_e32 v155, 0x35c8, v154
	v_fma_f16 v156, v84, 0x3b76, -v155
	v_fmac_f16_e32 v155, 0x3b76, v84
	v_add_f16_e32 v86, v156, v86
	v_sub_f16_e32 v156, v135, v115
	v_add_f16_e32 v135, v135, v136
	v_mul_f16_e32 v136, 0xb8d2, v150
	v_mul_f16_e32 v157, 0xb836, v156
	v_add_f16_e32 v135, v139, v135
	v_fma_f16 v158, v83, 0xbacd, -v157
	v_fmac_f16_e32 v157, 0xbacd, v83
	v_add_f16_e32 v135, v138, v135
	v_add_f16_e32 v86, v158, v86
	v_sub_f16_e32 v158, v139, v116
	v_add_f16_e32 v134, v134, v135
	v_mul_f16_e32 v139, 0xb964, v154
	v_mul_f16_e32 v135, 0xbb29, v156
	v_mul_f16_e32 v159, 0x3964, v158
	v_add_f16_e32 v134, v140, v134
	v_fma_f16 v160, v82, 0x39e9, -v159
	v_fmac_f16_e32 v159, 0x39e9, v82
	v_add_f16_e32 v134, v141, v134
	v_add_f16_e32 v86, v160, v86
	v_mul_f16_e32 v160, 0x3bf7, v72
	v_fmamk_f16 v162, v161, 0x2de8, v160
	v_add_f16_e32 v23, v162, v23
	v_sub_f16_e32 v162, v138, v117
	v_mul_f16_e32 v138, 0xbacd, v152
	v_mul_f16_e32 v163, 0xba62, v162
	v_fma_f16 v164, v75, 0xb8d2, -v163
	v_fmac_f16_e32 v163, 0xb8d2, v75
	v_add_f16_e32 v86, v164, v86
	v_mul_f16_e32 v164, 0x3b29, v120
	v_fma_f16 v165, v73, 0x3722, -v164
	v_fmac_f16_e32 v164, 0x3722, v73
	v_add_f16_e32 v86, v165, v86
	v_sub_f16_e32 v165, v140, v119
	v_mul_f16_e32 v140, 0xbbf7, v158
	v_mul_f16_e32 v28, 0xbbb2, v165
	v_fma_f16 v27, v74, 0xb461, -v28
	v_fmac_f16_e32 v28, 0xb461, v74
	v_add_f16_e32 v27, v27, v86
	v_sub_f16_e32 v86, v141, v133
	v_add_f16_e32 v133, v133, v134
	v_mul_f16_e32 v141, 0xbbb2, v162
	v_mul_f16_e32 v134, 0xbbdd, v161
	;; [unrolled: 1-line block ×3, first 2 shown]
	v_add_f16_e32 v119, v119, v133
	v_mul_f16_e32 v137, 0x35c8, v86
	v_fma_f16 v25, v70, 0x2de8, -v166
	v_fmac_f16_e32 v166, 0x2de8, v70
	v_add_f16_e32 v118, v118, v119
	v_mul_f16_e32 v119, 0xb836, v165
	v_add_f16_e32 v25, v25, v27
	v_add_f16_e32 v27, v155, v76
	v_fma_f16 v76, v150, 0x3722, -v151
	v_add_f16_e32 v117, v117, v118
	v_pack_b32_f16 v23, v25, v23
	v_add_f16_e32 v27, v157, v27
	v_add_f16_e32 v66, v76, v66
	v_fma_f16 v76, v152, 0xb461, -v153
	v_mul_f16_e32 v153, 0x3722, v149
	v_mul_f16_e32 v157, 0x2de8, v85
	v_add_f16_e32 v27, v159, v27
	v_add_f16_e32 v116, v116, v117
	;; [unrolled: 1-line block ×3, first 2 shown]
	v_mul_f16_e32 v76, 0xbacd, v87
	v_fmamk_f16 v155, v80, 0xbb29, v153
	v_mul_f16_e32 v149, 0x39e9, v149
	v_add_f16_e32 v113, v115, v116
	v_fmac_f16_e32 v153, 0x3b29, v80
	v_fmamk_f16 v151, v81, 0x3836, v76
	v_fmac_f16_e32 v76, 0xb836, v81
	v_fmamk_f16 v249, v80, 0x3964, v149
	v_add_f16_e32 v113, v114, v113
	v_fmac_f16_e32 v149, 0xb964, v80
	v_add_f16_e32 v151, v132, v151
	v_add_f16_e32 v76, v132, v76
	;; [unrolled: 1-line block ×5, first 2 shown]
	v_fma_f16 v27, v161, 0x2de8, -v160
	v_add_f16_e32 v76, v153, v76
	v_pack_b32_f16 v69, v69, v113
	v_add_f16_e32 v27, v27, v66
	v_fmamk_f16 v66, v78, 0x3bf7, v157
	v_fmac_f16_e32 v157, 0xbbf7, v78
	v_add_f16_e32 v66, v66, v151
	v_add_f16_e32 v151, v164, v155
	v_mul_f16_e32 v155, 0xb8d2, v91
	v_add_f16_e32 v76, v157, v76
	v_add_f16_e32 v28, v28, v151
	v_fmamk_f16 v159, v79, 0xba62, v155
	v_mul_f16_e32 v151, 0x3b76, v92
	v_fmac_f16_e32 v155, 0x3a62, v79
	v_add_f16_e32 v28, v166, v28
	v_add_f16_e32 v66, v159, v66
	v_fmamk_f16 v159, v77, 0x35c8, v151
	v_add_f16_e32 v76, v155, v76
	v_fmac_f16_e32 v151, 0xb5c8, v77
	v_pack_b32_f16 v25, v28, v27
	v_add_f16_e32 v66, v159, v66
	v_mul_f16_e32 v159, 0xbbdd, v150
	v_add_f16_e32 v76, v151, v76
	v_fmamk_f16 v160, v71, 0x31e1, v159
	v_fmac_f16_e32 v159, 0xb1e1, v71
	v_add_f16_e32 v66, v160, v66
	v_mul_f16_e32 v160, 0x3b29, v154
	v_add_f16_e32 v76, v159, v76
	v_fmamk_f16 v163, v84, 0x3722, v160
	v_fma_f16 v115, v84, 0x3722, -v160
	v_add_f16_e32 v142, v163, v142
	v_mul_f16_e32 v163, 0x39e9, v152
	v_add_f16_e32 v88, v115, v88
	v_fmamk_f16 v164, v68, 0xb964, v163
	v_fmac_f16_e32 v163, 0x3964, v68
	v_add_f16_e32 v66, v164, v66
	v_mul_f16_e32 v164, 0xbbf7, v156
	v_add_f16_e32 v76, v163, v76
	v_fmamk_f16 v166, v83, 0x2de8, v164
	v_fma_f16 v114, v83, 0x2de8, -v164
	v_add_f16_e32 v142, v166, v142
	v_mul_f16_e32 v166, 0x3a62, v158
	v_add_f16_e32 v88, v114, v88
	v_fmamk_f16 v167, v82, 0xb8d2, v166
	v_fma_f16 v114, v82, 0xb8d2, -v166
	;; [unrolled: 5-line block ×3, first 2 shown]
	v_add_f16_e32 v142, v168, v142
	v_mul_f16_e32 v168, 0xb8d2, v87
	v_add_f16_e32 v88, v115, v88
	v_fmamk_f16 v169, v81, 0x3a62, v168
	v_fmac_f16_e32 v168, 0xba62, v81
	v_add_f16_e32 v169, v132, v169
	v_add_f16_e32 v114, v132, v168
	;; [unrolled: 1-line block ×3, first 2 shown]
	v_mul_f16_e32 v171, 0xb1e1, v120
	v_add_f16_e32 v114, v170, v114
	v_fmamk_f16 v172, v73, 0xbbdd, v171
	v_fma_f16 v115, v73, 0xbbdd, -v171
	v_add_f16_e32 v142, v172, v142
	v_mul_f16_e32 v172, 0x3b76, v85
	v_add_f16_e32 v88, v115, v88
	v_fmamk_f16 v173, v78, 0x35c8, v172
	v_fmac_f16_e32 v172, 0xb5c8, v78
	v_add_f16_e32 v169, v173, v169
	v_mul_f16_e32 v173, 0xb461, v161
	v_add_f16_e32 v114, v172, v114
	v_fmamk_f16 v174, v72, 0x3bb2, v173
	v_fmac_f16_e32 v173, 0xbbb2, v72
	v_add_f16_e32 v66, v174, v66
	v_mul_f16_e32 v174, 0x3964, v165
	v_add_f16_e32 v76, v173, v76
	v_fmamk_f16 v175, v74, 0x39e9, v174
	v_fma_f16 v115, v74, 0x39e9, -v174
	v_add_f16_e32 v142, v175, v142
	v_mul_f16_e32 v175, 0xbacd, v91
	v_add_f16_e32 v88, v115, v88
	v_fmamk_f16 v176, v79, 0x3836, v175
	v_fmac_f16_e32 v175, 0xb836, v79
	v_add_f16_e32 v169, v176, v169
	v_mul_f16_e32 v176, 0x2de8, v92
	v_add_f16_e32 v114, v175, v114
	v_fmamk_f16 v177, v77, 0xbbf7, v176
	v_fmac_f16_e32 v176, 0x3bf7, v77
	;; [unrolled: 5-line block ×3, first 2 shown]
	v_add_f16_e32 v169, v178, v169
	v_mul_f16_e32 v178, 0x3bb2, v154
	v_add_f16_e32 v114, v177, v114
	v_fmamk_f16 v179, v84, 0xb461, v178
	v_fma_f16 v115, v84, 0xb461, -v178
	v_add_f16_e32 v147, v179, v147
	v_mul_f16_e32 v179, 0xbbb2, v86
	v_add_f16_e32 v89, v115, v89
	v_fmamk_f16 v180, v70, 0xb461, v179
	v_add_f16_e32 v142, v180, v142
	v_mul_f16_e32 v180, 0xbbdd, v152
	v_pack_b32_f16 v66, v142, v66
	v_fmamk_f16 v181, v68, 0x31e1, v180
	v_fmac_f16_e32 v180, 0xb1e1, v68
	v_add_f16_e32 v169, v181, v169
	v_mul_f16_e32 v181, 0xb5c8, v156
	v_add_f16_e32 v114, v180, v114
	v_fmamk_f16 v182, v83, 0x3b76, v181
	v_fma_f16 v115, v83, 0x3b76, -v181
	v_add_f16_e32 v147, v182, v147
	v_mul_f16_e32 v182, 0xb836, v158
	v_add_f16_e32 v89, v115, v89
	v_fma_f16 v115, v70, 0xb461, -v179
	v_fmamk_f16 v183, v82, 0xbacd, v182
	v_add_f16_e32 v88, v115, v88
	v_fma_f16 v115, v82, 0xbacd, -v182
	v_add_f16_e32 v147, v183, v147
	v_mul_f16_e32 v183, 0x3bf7, v162
	v_pack_b32_f16 v28, v88, v76
	v_add_f16_e32 v89, v115, v89
	v_fmamk_f16 v184, v75, 0x2de8, v183
	v_fma_f16 v116, v75, 0x2de8, -v183
	v_add_f16_e32 v147, v184, v147
	v_mul_f16_e32 v184, 0xb461, v87
	v_add_f16_e32 v89, v116, v89
	v_fmamk_f16 v185, v81, 0x3bb2, v184
	v_fmac_f16_e32 v184, 0xbbb2, v81
	v_add_f16_e32 v185, v132, v185
	v_add_f16_e32 v115, v132, v184
	;; [unrolled: 1-line block ×3, first 2 shown]
	v_mul_f16_e32 v187, 0xb964, v120
	v_add_f16_e32 v115, v186, v115
	v_fmamk_f16 v188, v73, 0x39e9, v187
	v_fma_f16 v116, v73, 0x39e9, -v187
	v_add_f16_e32 v147, v188, v147
	v_mul_f16_e32 v188, 0x39e9, v85
	v_add_f16_e32 v89, v116, v89
	v_fmamk_f16 v189, v78, 0xb964, v188
	v_fmac_f16_e32 v188, 0x3964, v78
	v_add_f16_e32 v185, v189, v185
	v_mul_f16_e32 v189, 0x3722, v161
	v_add_f16_e32 v115, v188, v115
	v_fmamk_f16 v190, v72, 0xbb29, v189
	v_fmac_f16_e32 v189, 0x3b29, v72
	v_add_f16_e32 v169, v190, v169
	v_mul_f16_e32 v190, 0xb1e1, v165
	v_add_f16_e32 v114, v189, v114
	v_fmamk_f16 v191, v74, 0xbbdd, v190
	v_add_f16_e32 v147, v191, v147
	v_mul_f16_e32 v191, 0x3722, v91
	v_fmamk_f16 v192, v79, 0x3b29, v191
	v_fmac_f16_e32 v191, 0xbb29, v79
	v_add_f16_e32 v185, v192, v185
	v_mul_f16_e32 v192, 0xbbdd, v92
	v_add_f16_e32 v115, v191, v115
	v_fmamk_f16 v193, v77, 0x31e1, v192
	v_fmac_f16_e32 v192, 0xb1e1, v77
	v_add_f16_e32 v185, v193, v185
	v_mul_f16_e32 v193, 0x2de8, v150
	v_add_f16_e32 v115, v192, v115
	;; [unrolled: 5-line block ×3, first 2 shown]
	v_fmamk_f16 v195, v84, 0xbacd, v194
	v_fma_f16 v116, v84, 0xbacd, -v194
	v_add_f16_e32 v143, v195, v143
	v_mul_f16_e32 v195, 0x3b29, v86
	v_add_f16_e32 v90, v116, v90
	v_fma_f16 v116, v74, 0xbbdd, -v190
	v_fmamk_f16 v196, v70, 0x3722, v195
	v_add_f16_e32 v89, v116, v89
	v_add_f16_e32 v147, v196, v147
	v_mul_f16_e32 v196, 0x3b76, v152
	v_fmamk_f16 v197, v68, 0x35c8, v196
	v_fmac_f16_e32 v196, 0xb5c8, v68
	v_add_f16_e32 v185, v197, v185
	v_mul_f16_e32 v197, 0x3964, v156
	v_add_f16_e32 v115, v196, v115
	v_fmamk_f16 v198, v83, 0x39e9, v197
	v_fma_f16 v116, v83, 0x39e9, -v197
	v_add_f16_e32 v143, v198, v143
	v_mul_f16_e32 v198, 0xbb29, v158
	v_add_f16_e32 v90, v116, v90
	v_fmamk_f16 v199, v82, 0x3722, v198
	v_fma_f16 v116, v82, 0x3722, -v198
	v_add_f16_e32 v143, v199, v143
	v_mul_f16_e32 v199, 0xb1e1, v162
	v_add_f16_e32 v90, v116, v90
	v_fma_f16 v116, v70, 0x3722, -v195
	v_fmamk_f16 v200, v75, 0xbbdd, v199
	v_add_f16_e32 v89, v116, v89
	v_fma_f16 v116, v75, 0xbbdd, -v199
	v_add_f16_e32 v143, v200, v143
	v_mul_f16_e32 v200, 0x2de8, v87
	v_pack_b32_f16 v27, v89, v114
	v_add_f16_e32 v90, v116, v90
	v_fmamk_f16 v201, v81, 0x3bf7, v200
	v_fmac_f16_e32 v200, 0xbbf7, v81
	v_add_f16_e32 v201, v132, v201
	v_add_f16_e32 v116, v132, v200
	v_add_f16_e32 v201, v203, v201
	v_mul_f16_e32 v203, 0x3bf7, v120
	v_add_f16_e32 v116, v202, v116
	v_fmamk_f16 v204, v73, 0x2de8, v203
	v_fma_f16 v117, v73, 0x2de8, -v203
	v_add_f16_e32 v143, v204, v143
	v_mul_f16_e32 v204, 0xb461, v85
	v_add_f16_e32 v90, v117, v90
	v_fmamk_f16 v205, v78, 0xbbb2, v204
	v_fmac_f16_e32 v204, 0x3bb2, v78
	v_add_f16_e32 v201, v205, v201
	v_mul_f16_e32 v205, 0xb8d2, v161
	v_add_f16_e32 v116, v204, v116
	v_fmamk_f16 v206, v72, 0x3a62, v205
	v_fmac_f16_e32 v205, 0xba62, v72
	v_add_f16_e32 v185, v206, v185
	v_mul_f16_e32 v206, 0xb5c8, v165
	v_add_f16_e32 v115, v205, v115
	v_fmamk_f16 v207, v74, 0x3b76, v206
	v_fma_f16 v117, v74, 0x3b76, -v206
	v_add_f16_e32 v143, v207, v143
	v_mul_f16_e32 v207, 0x3b76, v91
	v_add_f16_e32 v90, v117, v90
	v_fmamk_f16 v208, v79, 0xb5c8, v207
	v_fmac_f16_e32 v207, 0x35c8, v79
	v_add_f16_e32 v201, v208, v201
	v_mul_f16_e32 v208, 0x3722, v92
	v_add_f16_e32 v116, v207, v116
	v_fmamk_f16 v209, v77, 0x3b29, v208
	v_fmac_f16_e32 v208, 0xbb29, v77
	;; [unrolled: 5-line block ×3, first 2 shown]
	v_add_f16_e32 v201, v210, v201
	v_mul_f16_e32 v210, 0xb1e1, v154
	v_add_f16_e32 v116, v209, v116
	v_fmamk_f16 v211, v84, 0xbbdd, v210
	v_fma_f16 v117, v84, 0xbbdd, -v210
	v_add_f16_e32 v144, v211, v144
	v_mul_f16_e32 v211, 0xba62, v86
	v_add_f16_e32 v67, v117, v67
	v_fmamk_f16 v212, v70, 0xb8d2, v211
	v_add_f16_e32 v143, v212, v143
	v_mul_f16_e32 v212, 0xb8d2, v152
	v_fmamk_f16 v213, v68, 0xba62, v212
	v_fmac_f16_e32 v212, 0x3a62, v68
	v_add_f16_e32 v201, v213, v201
	v_mul_f16_e32 v213, 0x3bb2, v156
	v_add_f16_e32 v116, v212, v116
	v_fmamk_f16 v214, v83, 0xb461, v213
	v_fma_f16 v117, v83, 0xb461, -v213
	v_add_f16_e32 v144, v214, v144
	v_mul_f16_e32 v214, 0x35c8, v158
	v_add_f16_e32 v67, v117, v67
	v_fmamk_f16 v215, v82, 0x3b76, v214
	v_fma_f16 v117, v82, 0x3b76, -v214
	;; [unrolled: 5-line block ×3, first 2 shown]
	v_add_f16_e32 v144, v216, v144
	v_mul_f16_e32 v216, 0x3722, v87
	v_add_f16_e32 v67, v121, v67
	v_fma_f16 v121, v70, 0xb8d2, -v211
	v_fmamk_f16 v217, v81, 0x3b29, v216
	v_fmac_f16_e32 v216, 0xbb29, v81
	v_add_f16_e32 v90, v121, v90
	v_add_f16_e32 v217, v132, v217
	;; [unrolled: 1-line block ×4, first 2 shown]
	v_mul_f16_e32 v219, 0xb836, v120
	v_add_f16_e32 v117, v218, v117
	v_fmamk_f16 v220, v73, 0xbacd, v219
	v_fma_f16 v121, v73, 0xbacd, -v219
	v_add_f16_e32 v144, v220, v144
	v_mul_f16_e32 v220, 0xbbdd, v85
	v_add_f16_e32 v67, v121, v67
	v_fmamk_f16 v221, v78, 0xb1e1, v220
	v_fmac_f16_e32 v220, 0x31e1, v78
	v_add_f16_e32 v217, v221, v217
	v_mul_f16_e32 v221, 0x39e9, v161
	v_add_f16_e32 v117, v220, v117
	v_fmamk_f16 v222, v72, 0xb964, v221
	v_fmac_f16_e32 v221, 0x3964, v72
	v_add_f16_e32 v201, v222, v201
	v_mul_f16_e32 v222, 0x3a62, v165
	v_add_f16_e32 v116, v221, v116
	v_fmamk_f16 v223, v74, 0xb8d2, v222
	v_add_f16_e32 v144, v223, v144
	v_mul_f16_e32 v223, 0xb461, v91
	v_fmamk_f16 v224, v79, 0xbbb2, v223
	v_fmac_f16_e32 v223, 0x3bb2, v79
	v_add_f16_e32 v217, v224, v217
	v_mul_f16_e32 v224, 0x39e9, v92
	v_add_f16_e32 v117, v223, v117
	v_fmamk_f16 v225, v77, 0xb964, v224
	v_fmac_f16_e32 v224, 0x3964, v77
	v_add_f16_e32 v217, v225, v217
	v_mul_f16_e32 v225, 0x3b76, v150
	v_add_f16_e32 v117, v224, v117
	v_fmamk_f16 v226, v71, 0x35c8, v225
	v_fmac_f16_e32 v225, 0xb5c8, v71
	v_add_f16_e32 v217, v226, v217
	v_mul_f16_e32 v226, 0xba62, v154
	v_add_f16_e32 v117, v225, v117
	v_fmamk_f16 v227, v84, 0xb8d2, v226
	v_fma_f16 v121, v84, 0xb8d2, -v226
	v_add_f16_e32 v145, v227, v145
	v_mul_f16_e32 v227, 0x3964, v86
	v_add_f16_e32 v65, v121, v65
	v_fmamk_f16 v228, v70, 0x39e9, v227
	v_add_f16_e32 v144, v228, v144
	v_mul_f16_e32 v228, 0x2de8, v152
	v_fmamk_f16 v229, v68, 0x3bf7, v228
	v_fmac_f16_e32 v228, 0xbbf7, v68
	v_add_f16_e32 v217, v229, v217
	v_mul_f16_e32 v229, 0x31e1, v156
	v_add_f16_e32 v117, v228, v117
	v_fmamk_f16 v230, v83, 0xbbdd, v229
	v_add_f16_e32 v145, v230, v145
	v_mul_f16_e32 v230, 0x3bb2, v158
	v_fmamk_f16 v231, v82, 0xb461, v230
	v_add_f16_e32 v145, v231, v145
	v_mul_f16_e32 v231, 0x3964, v162
	;; [unrolled: 3-line block ×3, first 2 shown]
	v_mul_f16_e32 v87, 0x3b76, v87
	v_fmamk_f16 v233, v81, 0x3964, v232
	v_fmac_f16_e32 v232, 0xb964, v81
	v_add_f16_e32 v233, v132, v233
	v_add_f16_e32 v121, v132, v232
	;; [unrolled: 1-line block ×3, first 2 shown]
	v_mul_f16_e32 v235, 0xb5c8, v120
	v_add_f16_e32 v121, v234, v121
	v_fmamk_f16 v236, v73, 0x3b76, v235
	v_add_f16_e32 v145, v236, v145
	v_mul_f16_e32 v236, 0xb8d2, v85
	v_mul_f16_e32 v85, 0x3722, v85
	v_fmamk_f16 v237, v78, 0x3a62, v236
	v_fmac_f16_e32 v236, 0xba62, v78
	v_add_f16_e32 v233, v237, v233
	v_mul_f16_e32 v237, 0xbacd, v161
	v_add_f16_e32 v121, v236, v121
	v_fmamk_f16 v238, v72, 0x3836, v237
	v_fmac_f16_e32 v237, 0xb836, v72
	v_add_f16_e32 v217, v238, v217
	v_mul_f16_e32 v238, 0xbbf7, v165
	v_add_f16_e32 v117, v237, v117
	v_fmamk_f16 v239, v74, 0x2de8, v238
	v_add_f16_e32 v145, v239, v145
	v_mul_f16_e32 v239, 0xbbdd, v91
	v_mul_f16_e32 v91, 0x2de8, v91
	v_fmamk_f16 v240, v79, 0x31e1, v239
	v_fmac_f16_e32 v239, 0xb1e1, v79
	v_add_f16_e32 v233, v240, v233
	v_mul_f16_e32 v240, 0xbacd, v92
	v_mul_f16_e32 v92, 0xb461, v92
	v_add_f16_e32 v121, v239, v121
	v_fmamk_f16 v241, v77, 0xb836, v240
	v_fmac_f16_e32 v240, 0x3836, v77
	v_add_f16_e32 v233, v241, v233
	v_mul_f16_e32 v241, 0xb461, v150
	v_fmamk_f16 v150, v71, 0x3a62, v136
	v_fmac_f16_e32 v136, 0xba62, v71
	v_add_f16_e32 v121, v240, v121
	v_fmamk_f16 v242, v71, 0xbbb2, v241
	v_fmac_f16_e32 v241, 0x3bb2, v71
	v_add_f16_e32 v233, v242, v233
	v_mul_f16_e32 v242, 0xbbf7, v154
	v_fmamk_f16 v154, v84, 0x39e9, v139
	v_add_f16_e32 v121, v241, v121
	v_fmamk_f16 v243, v84, 0x2de8, v242
	v_add_f16_e32 v146, v154, v146
	v_fma_f16 v80, v84, 0x2de8, -v242
	v_add_f16_e32 v148, v243, v148
	v_mul_f16_e32 v243, 0xb836, v86
	v_mul_f16_e32 v86, 0xb1e1, v86
	v_add_f16_e32 v26, v80, v26
	v_fmamk_f16 v244, v70, 0xbacd, v243
	v_fmamk_f16 v118, v70, 0xbbdd, v86
	v_add_f16_e32 v145, v244, v145
	v_mul_f16_e32 v244, 0x3722, v152
	v_fmamk_f16 v152, v68, 0x3836, v138
	v_fmac_f16_e32 v138, 0xb836, v68
	v_fmamk_f16 v245, v68, 0xbb29, v244
	v_fmac_f16_e32 v244, 0x3b29, v68
	v_add_f16_e32 v233, v245, v233
	v_mul_f16_e32 v245, 0xba62, v156
	v_fmamk_f16 v246, v83, 0xb8d2, v245
	v_add_f16_e32 v148, v246, v148
	v_mul_f16_e32 v246, 0xb1e1, v158
	v_fmamk_f16 v247, v82, 0xbbdd, v246
	;; [unrolled: 3-line block ×3, first 2 shown]
	v_add_f16_e32 v148, v248, v148
	v_fmamk_f16 v248, v81, 0x35c8, v87
	v_fmac_f16_e32 v87, 0xb5c8, v81
	v_fma_f16 v81, v74, 0x2de8, -v238
	v_add_f16_e32 v248, v132, v248
	v_add_f16_e32 v248, v249, v248
	v_mul_f16_e32 v249, 0x3b76, v161
	v_fmamk_f16 v250, v72, 0xb5c8, v249
	v_fmac_f16_e32 v249, 0x35c8, v72
	v_add_f16_e32 v233, v250, v233
	v_mul_f16_e32 v250, 0x3bb2, v120
	v_mul_f16_e32 v120, 0xba62, v120
	v_fmamk_f16 v251, v73, 0xb461, v250
	v_fmamk_f16 v133, v73, 0xb8d2, v120
	v_fma_f16 v71, v73, 0xb461, -v250
	v_fma_f16 v68, v73, 0xb8d2, -v120
	v_add_f16_e32 v148, v251, v148
	v_fmamk_f16 v251, v78, 0x3b29, v85
	v_fmac_f16_e32 v85, 0xbb29, v78
	v_fma_f16 v78, v84, 0x39e9, -v139
	v_add_f16_e32 v248, v251, v248
	v_fmamk_f16 v251, v79, 0x3bf7, v91
	v_add_f16_e32 v24, v78, v24
	v_fma_f16 v78, v83, 0x3722, -v135
	v_fmac_f16_e32 v91, 0xbbf7, v79
	v_fma_f16 v79, v82, 0xbbdd, -v246
	v_add_f16_e32 v248, v251, v248
	v_mul_f16_e32 v251, 0x3b29, v165
	v_add_f16_e32 v24, v78, v24
	v_fma_f16 v78, v82, 0x2de8, -v140
	v_fmamk_f16 v252, v74, 0x3722, v251
	v_add_f16_e32 v24, v78, v24
	v_fma_f16 v78, v70, 0xbacd, -v243
	v_add_f16_e32 v148, v252, v148
	v_fmamk_f16 v252, v77, 0x3bb2, v92
	v_fmac_f16_e32 v92, 0xbbb2, v77
	v_fma_f16 v77, v75, 0xbacd, -v247
	v_add_f16_e32 v248, v252, v248
	v_fmamk_f16 v252, v70, 0x3b76, v137
	v_add_f16_e32 v150, v150, v248
	v_add_f16_e32 v148, v252, v148
	;; [unrolled: 1-line block ×3, first 2 shown]
	v_fmamk_f16 v152, v83, 0x3722, v135
	v_add_f16_e32 v146, v152, v146
	v_fmamk_f16 v152, v82, 0x2de8, v140
	v_add_f16_e32 v146, v152, v146
	;; [unrolled: 2-line block ×3, first 2 shown]
	v_fmamk_f16 v152, v72, 0x31e1, v134
	v_fmac_f16_e32 v134, 0xb1e1, v72
	v_add_f16_e32 v133, v133, v146
	v_fmamk_f16 v146, v74, 0xbacd, v119
	v_add_f16_e32 v150, v152, v150
	v_add_f16_e32 v133, v146, v133
	v_add_f16_e32 v118, v118, v133
	v_fma_f16 v133, v74, 0xb8d2, -v222
	v_add_f16_e32 v67, v133, v67
	v_fma_f16 v133, v83, 0xbbdd, -v229
	v_add_f16_e32 v65, v133, v65
	;; [unrolled: 2-line block ×3, first 2 shown]
	v_fma_f16 v133, v75, 0x39e9, -v231
	v_fma_f16 v75, v75, 0xb461, -v141
	v_add_f16_e32 v65, v133, v65
	v_fma_f16 v133, v70, 0x39e9, -v227
	v_add_f16_e32 v24, v75, v24
	v_pack_b32_f16 v75, v148, v233
	v_add_f16_e32 v67, v133, v67
	v_fma_f16 v133, v73, 0x3b76, -v235
	v_add_f16_e32 v24, v68, v24
	v_fma_f16 v68, v74, 0xbacd, -v119
	v_add_f16_e32 v65, v133, v65
	v_add_f16_e32 v24, v68, v24
	v_fma_f16 v68, v70, 0xbbdd, -v86
	v_add_f16_e32 v65, v81, v65
	v_add_f16_e32 v81, v132, v87
	;; [unrolled: 1-line block ×5, first 2 shown]
	v_fma_f16 v81, v83, 0xb8d2, -v245
	v_pack_b32_f16 v78, v144, v201
	v_pack_b32_f16 v65, v65, v117
	v_add_f16_e32 v80, v85, v80
	v_add_f16_e32 v26, v81, v26
	;; [unrolled: 1-line block ×8, first 2 shown]
	v_pack_b32_f16 v79, v147, v169
	v_add_f16_e32 v26, v71, v26
	v_fma_f16 v71, v74, 0x3722, -v251
	v_add_f16_e32 v77, v136, v77
	v_pack_b32_f16 v74, v145, v217
	v_add_f16_e32 v26, v71, v26
	v_fma_f16 v71, v70, 0x3b76, -v137
	v_add_f16_e32 v73, v138, v77
	v_lshlrev_b32_e32 v70, 2, v112
	v_pack_b32_f16 v77, v143, v185
	v_add_f16_e32 v26, v71, v26
	v_add_f16_e32 v71, v134, v73
	v_pack_b32_f16 v73, v118, v150
	ds_write2_b32 v70, v69, v73 offset1:1
	ds_write2_b32 v70, v75, v74 offset0:2 offset1:3
	ds_write2_b32 v70, v78, v77 offset0:4 offset1:5
	;; [unrolled: 1-line block ×3, first 2 shown]
	v_pack_b32_f16 v66, v67, v116
	v_pack_b32_f16 v67, v90, v115
	v_pack_b32_f16 v26, v26, v72
	v_pack_b32_f16 v24, v24, v71
	ds_write2_b32 v70, v25, v23 offset0:8 offset1:9
	ds_write2_b32 v70, v28, v27 offset0:10 offset1:11
	;; [unrolled: 1-line block ×4, first 2 shown]
	ds_write_b32 v70, v24 offset:64
.LBB0_13:
	s_or_b32 exec_lo, exec_lo, s0
	v_add_nc_u32_e32 v67, 0x400, v93
	v_add_nc_u32_e32 v65, 0xc00, v93
	s_waitcnt lgkmcnt(0)
	s_barrier
	buffer_gl0_inv
	ds_read2_b32 v[25:26], v93 offset1:51
	ds_read2_b32 v[23:24], v67 offset0:152 offset1:203
	ds_read2_b32 v[69:70], v65 offset0:150 offset1:201
	v_add_nc_u32_e32 v68, 0x600, v93
	ds_read2_b32 v[71:72], v68 offset0:126 offset1:177
	ds_read2_b32 v[73:74], v93 offset0:102 offset1:153
	v_add_nc_u32_e32 v28, 0xe00, v93
	v_add_nc_u32_e32 v66, 0x800, v93
	;; [unrolled: 1-line block ×3, first 2 shown]
	s_mov_b32 s4, 0xdee863a6
	s_mov_b32 s5, 0x3f47cbf1
	ds_read2_b32 v[75:76], v28 offset0:124 offset1:175
	ds_read2_b32 v[77:78], v66 offset0:100 offset1:151
	;; [unrolled: 1-line block ×8, first 2 shown]
	ds_read_b32 v119, v93 offset:5304
	s_waitcnt lgkmcnt(0)
	s_barrier
	buffer_gl0_inv
	v_lshrrev_b32_e32 v91, 16, v25
	v_lshrrev_b32_e32 v112, 16, v24
	;; [unrolled: 1-line block ×4, first 2 shown]
	v_mul_f16_sdwa v148, v45, v24 dst_sel:DWORD dst_unused:UNUSED_PAD src0_sel:WORD_1 src1_sel:DWORD
	v_lshrrev_b32_e32 v92, 16, v26
	v_mul_f16_sdwa v146, v45, v112 dst_sel:DWORD dst_unused:UNUSED_PAD src0_sel:WORD_1 src1_sel:DWORD
	v_lshrrev_b32_e32 v114, 16, v71
	;; [unrolled: 2-line block ×3, first 2 shown]
	v_lshrrev_b32_e32 v121, 16, v77
	v_fmac_f16_e32 v146, v45, v24
	v_mul_f16_sdwa v24, v46, v69 dst_sel:DWORD dst_unused:UNUSED_PAD src0_sel:WORD_1 src1_sel:DWORD
	v_fma_f16 v45, v45, v112, -v148
	v_mul_f16_sdwa v112, v43, v114 dst_sel:DWORD dst_unused:UNUSED_PAD src0_sel:WORD_1 src1_sel:DWORD
	v_fmac_f16_e32 v150, v46, v69
	v_mul_f16_sdwa v69, v43, v71 dst_sel:DWORD dst_unused:UNUSED_PAD src0_sel:WORD_1 src1_sel:DWORD
	v_fma_f16 v24, v46, v113, -v24
	v_mul_f16_sdwa v46, v44, v115 dst_sel:DWORD dst_unused:UNUSED_PAD src0_sel:WORD_1 src1_sel:DWORD
	v_lshrrev_b32_e32 v118, 16, v75
	v_fmac_f16_e32 v112, v43, v71
	v_mul_f16_sdwa v71, v44, v70 dst_sel:DWORD dst_unused:UNUSED_PAD src0_sel:WORD_1 src1_sel:DWORD
	v_fma_f16 v43, v43, v114, -v69
	v_mul_f16_sdwa v69, v41, v117 dst_sel:DWORD dst_unused:UNUSED_PAD src0_sel:WORD_1 src1_sel:DWORD
	v_fmac_f16_e32 v46, v44, v70
	v_mul_f16_sdwa v70, v41, v72 dst_sel:DWORD dst_unused:UNUSED_PAD src0_sel:WORD_1 src1_sel:DWORD
	v_lshrrev_b32_e32 v132, 16, v76
	v_fma_f16 v44, v44, v115, -v71
	v_mul_f16_sdwa v71, v42, v118 dst_sel:DWORD dst_unused:UNUSED_PAD src0_sel:WORD_1 src1_sel:DWORD
	v_fmac_f16_e32 v69, v41, v72
	v_mul_f16_sdwa v72, v42, v75 dst_sel:DWORD dst_unused:UNUSED_PAD src0_sel:WORD_1 src1_sel:DWORD
	v_fma_f16 v41, v41, v117, -v70
	v_mul_f16_sdwa v70, v39, v121 dst_sel:DWORD dst_unused:UNUSED_PAD src0_sel:WORD_1 src1_sel:DWORD
	v_lshrrev_b32_e32 v134, 16, v78
	v_lshrrev_b32_e32 v135, 16, v81
	v_fmac_f16_e32 v71, v42, v75
	v_mul_f16_sdwa v75, v39, v77 dst_sel:DWORD dst_unused:UNUSED_PAD src0_sel:WORD_1 src1_sel:DWORD
	v_fma_f16 v42, v42, v118, -v72
	v_mul_f16_sdwa v72, v40, v132 dst_sel:DWORD dst_unused:UNUSED_PAD src0_sel:WORD_1 src1_sel:DWORD
	v_fmac_f16_e32 v70, v39, v77
	v_mul_f16_sdwa v77, v40, v76 dst_sel:DWORD dst_unused:UNUSED_PAD src0_sel:WORD_1 src1_sel:DWORD
	v_lshrrev_b32_e32 v137, 16, v83
	v_fma_f16 v39, v39, v121, -v75
	v_mul_f16_sdwa v75, v37, v134 dst_sel:DWORD dst_unused:UNUSED_PAD src0_sel:WORD_1 src1_sel:DWORD
	v_fmac_f16_e32 v72, v40, v76
	v_mul_f16_sdwa v76, v37, v78 dst_sel:DWORD dst_unused:UNUSED_PAD src0_sel:WORD_1 src1_sel:DWORD
	v_fma_f16 v40, v40, v132, -v77
	v_mul_f16_sdwa v77, v38, v135 dst_sel:DWORD dst_unused:UNUSED_PAD src0_sel:WORD_1 src1_sel:DWORD
	v_lshrrev_b32_e32 v138, 16, v82
	;; [unrolled: 15-line block ×4, first 2 shown]
	v_fmac_f16_e32 v82, v31, v89
	v_mul_f16_sdwa v89, v32, v88 dst_sel:DWORD dst_unused:UNUSED_PAD src0_sel:WORD_1 src1_sel:DWORD
	v_fma_f16 v31, v31, v143, -v87
	v_mul_f16_sdwa v87, v29, v147 dst_sel:DWORD dst_unused:UNUSED_PAD src0_sel:WORD_1 src1_sel:DWORD
	v_fmac_f16_e32 v84, v32, v88
	v_mul_f16_sdwa v88, v29, v90 dst_sel:DWORD dst_unused:UNUSED_PAD src0_sel:WORD_1 src1_sel:DWORD
	v_fma_f16 v32, v32, v144, -v89
	v_mul_f16_sdwa v89, v30, v149 dst_sel:DWORD dst_unused:UNUSED_PAD src0_sel:WORD_1 src1_sel:DWORD
	v_fmac_f16_e32 v87, v29, v90
	v_mul_f16_sdwa v90, v30, v119 dst_sel:DWORD dst_unused:UNUSED_PAD src0_sel:WORD_1 src1_sel:DWORD
	v_fma_f16 v29, v29, v147, -v88
	v_add_f16_e32 v88, v146, v150
	v_fmac_f16_e32 v89, v30, v119
	v_add_f16_e32 v113, v25, v146
	v_fma_f16 v30, v30, v149, -v90
	v_add_f16_e32 v90, v45, v24
	v_fma_f16 v25, -0.5, v88, v25
	v_sub_f16_e32 v88, v45, v24
	v_add_f16_e32 v45, v91, v45
	v_add_f16_e32 v115, v26, v112
	v_fmac_f16_e32 v91, -0.5, v90
	v_sub_f16_e32 v90, v146, v150
	v_fmamk_f16 v114, v88, 0xbaee, v25
	v_add_f16_e32 v24, v45, v24
	v_add_f16_e32 v45, v112, v46
	v_fmac_f16_e32 v25, 0x3aee, v88
	v_fmamk_f16 v88, v90, 0x3aee, v91
	v_fmac_f16_e32 v91, 0xbaee, v90
	v_add_f16_e32 v90, v43, v44
	v_fmac_f16_e32 v26, -0.5, v45
	v_sub_f16_e32 v45, v43, v44
	v_add_f16_e32 v43, v92, v43
	v_lshrrev_b32_e32 v116, 16, v73
	v_add_f16_e32 v115, v115, v46
	v_fmac_f16_e32 v92, -0.5, v90
	v_sub_f16_e32 v46, v112, v46
	v_add_f16_e32 v43, v43, v44
	v_add_f16_e32 v44, v69, v71
	v_fmamk_f16 v90, v45, 0xbaee, v26
	v_fmac_f16_e32 v26, 0x3aee, v45
	v_fmamk_f16 v45, v46, 0x3aee, v92
	v_add_f16_e32 v112, v73, v69
	v_fmac_f16_e32 v92, 0xbaee, v46
	v_add_f16_e32 v46, v41, v42
	v_fma_f16 v44, -0.5, v44, v73
	v_sub_f16_e32 v73, v41, v42
	v_add_f16_e32 v41, v116, v41
	v_lshrrev_b32_e32 v120, 16, v74
	v_fmac_f16_e32 v116, -0.5, v46
	v_sub_f16_e32 v46, v69, v71
	v_add_f16_e32 v112, v112, v71
	v_add_f16_e32 v41, v41, v42
	v_add_f16_e32 v42, v70, v72
	v_fmamk_f16 v69, v73, 0xbaee, v44
	v_fmac_f16_e32 v44, 0x3aee, v73
	v_fmamk_f16 v71, v46, 0x3aee, v116
	v_add_f16_e32 v73, v74, v70
	v_fmac_f16_e32 v116, 0xbaee, v46
	v_add_f16_e32 v46, v39, v40
	v_fmac_f16_e32 v74, -0.5, v42
	v_sub_f16_e32 v42, v39, v40
	v_add_f16_e32 v39, v120, v39
	v_lshrrev_b32_e32 v133, 16, v79
	v_fmac_f16_e32 v120, -0.5, v46
	v_sub_f16_e32 v46, v70, v72
	v_add_f16_e32 v73, v73, v72
	v_add_f16_e32 v39, v39, v40
	v_add_f16_e32 v40, v75, v77
	v_fmamk_f16 v70, v42, 0xbaee, v74
	v_fmac_f16_e32 v74, 0x3aee, v42
	v_fmamk_f16 v42, v46, 0x3aee, v120
	v_add_f16_e32 v72, v79, v75
	v_fmac_f16_e32 v120, 0xbaee, v46
	v_add_f16_e32 v46, v37, v38
	v_fma_f16 v40, -0.5, v40, v79
	v_sub_f16_e32 v79, v37, v38
	v_add_f16_e32 v37, v133, v37
	v_lshrrev_b32_e32 v136, 16, v80
	v_fmac_f16_e32 v133, -0.5, v46
	v_sub_f16_e32 v46, v75, v77
	v_add_f16_e32 v72, v72, v77
	v_add_f16_e32 v37, v37, v38
	v_add_f16_e32 v38, v76, v78
	v_fmamk_f16 v75, v79, 0xbaee, v40
	v_fmac_f16_e32 v40, 0x3aee, v79
	v_fmamk_f16 v77, v46, 0x3aee, v133
	v_add_f16_e32 v79, v80, v76
	v_fmac_f16_e32 v133, 0xbaee, v46
	v_add_f16_e32 v46, v35, v36
	v_fmac_f16_e32 v80, -0.5, v38
	v_sub_f16_e32 v38, v35, v36
	v_add_f16_e32 v35, v136, v35
	v_lshrrev_b32_e32 v139, 16, v85
	v_fmac_f16_e32 v136, -0.5, v46
	v_sub_f16_e32 v46, v76, v78
	v_add_f16_e32 v79, v79, v78
	;; [unrolled: 30-line block ×3, first 2 shown]
	v_add_f16_e32 v31, v31, v32
	v_add_f16_e32 v32, v87, v89
	;; [unrolled: 1-line block ×3, first 2 shown]
	v_fmamk_f16 v82, v34, 0xbaee, v86
	v_fmac_f16_e32 v86, 0x3aee, v34
	v_fmamk_f16 v34, v46, 0x3aee, v142
	v_fmac_f16_e32 v142, 0xbaee, v46
	v_add_f16_e32 v46, v29, v30
	v_add_f16_e32 v84, v23, v87
	v_fmac_f16_e32 v23, -0.5, v32
	v_sub_f16_e32 v32, v29, v30
	v_add_f16_e32 v29, v145, v29
	v_fmac_f16_e32 v145, -0.5, v46
	v_sub_f16_e32 v46, v87, v89
	v_pack_b32_f16 v24, v113, v24
	v_fmamk_f16 v87, v32, 0xbaee, v23
	v_fmac_f16_e32 v23, 0x3aee, v32
	v_pack_b32_f16 v32, v114, v88
	v_pack_b32_f16 v25, v25, v91
	;; [unrolled: 1-line block ×4, first 2 shown]
	ds_write2_b32 v130, v24, v32 offset1:17
	ds_write_b32 v130, v25 offset:136
	ds_write2_b32 v127, v43, v45 offset1:17
	v_pack_b32_f16 v24, v26, v92
	v_pack_b32_f16 v25, v112, v41
	;; [unrolled: 1-line block ×7, first 2 shown]
	ds_write_b32 v127, v24 offset:136
	ds_write2_b32 v129, v25, v26 offset1:17
	ds_write_b32 v129, v32 offset:136
	ds_write2_b32 v128, v39, v41 offset1:17
	ds_write_b32 v128, v42 offset:136
	v_pack_b32_f16 v24, v72, v37
	v_pack_b32_f16 v25, v75, v77
	;; [unrolled: 1-line block ×5, first 2 shown]
	v_add_f16_e32 v84, v84, v89
	v_add_f16_e32 v29, v29, v30
	v_fmamk_f16 v30, v46, 0x3aee, v145
	v_pack_b32_f16 v37, v80, v136
	v_fmac_f16_e32 v145, 0xbaee, v46
	v_pack_b32_f16 v33, v78, v33
	v_pack_b32_f16 v38, v81, v83
	ds_write2_b32 v126, v24, v25 offset1:17
	ds_write_b32 v126, v26 offset:136
	ds_write2_b32 v125, v32, v35 offset1:17
	ds_write_b32 v125, v37 offset:136
	ds_write2_b32 v124, v33, v38 offset1:17
	v_pack_b32_f16 v24, v36, v139
	v_pack_b32_f16 v25, v85, v31
	;; [unrolled: 1-line block ×7, first 2 shown]
	ds_write_b32 v124, v24 offset:136
	ds_write2_b32 v123, v25, v26 offset1:17
	ds_write_b32 v123, v31 offset:136
	ds_write2_b32 v122, v29, v30 offset1:17
	ds_write_b32 v122, v23 offset:136
	s_waitcnt lgkmcnt(0)
	s_barrier
	buffer_gl0_inv
	ds_read2_b32 v[25:26], v93 offset1:51
	ds_read2_b32 v[23:24], v93 offset0:102 offset1:153
	ds_read2_b32 v[31:32], v67 offset0:50 offset1:101
	;; [unrolled: 1-line block ×12, first 2 shown]
	ds_read_b32 v84, v93 offset:5304
	s_waitcnt lgkmcnt(0)
	s_barrier
	buffer_gl0_inv
	v_lshrrev_b32_e32 v75, 16, v25
	v_lshrrev_b32_e32 v76, 16, v24
	;; [unrolled: 1-line block ×5, first 2 shown]
	v_mul_f16_sdwa v119, v0, v24 dst_sel:DWORD dst_unused:UNUSED_PAD src0_sel:WORD_1 src1_sel:DWORD
	v_mul_f16_sdwa v118, v0, v76 dst_sel:DWORD dst_unused:UNUSED_PAD src0_sel:WORD_1 src1_sel:DWORD
	;; [unrolled: 1-line block ×3, first 2 shown]
	v_lshrrev_b32_e32 v80, 16, v38
	v_lshrrev_b32_e32 v81, 16, v39
	;; [unrolled: 1-line block ×3, first 2 shown]
	v_fmac_f16_e32 v118, v0, v24
	v_fma_f16 v24, v0, v76, -v119
	v_fmac_f16_e32 v120, v1, v31
	v_mul_f16_sdwa v31, v1, v31 dst_sel:DWORD dst_unused:UNUSED_PAD src0_sel:WORD_1 src1_sel:DWORD
	v_mul_f16_sdwa v76, v2, v78 dst_sel:DWORD dst_unused:UNUSED_PAD src0_sel:WORD_1 src1_sel:DWORD
	;; [unrolled: 1-line block ×5, first 2 shown]
	v_lshrrev_b32_e32 v83, 16, v43
	v_lshrrev_b32_e32 v85, 16, v45
	v_fma_f16 v31, v1, v77, -v31
	v_fmac_f16_e32 v76, v2, v34
	v_fma_f16 v34, v2, v78, -v119
	v_fmac_f16_e32 v123, v3, v35
	v_fma_f16 v35, v3, v79, -v124
	v_mul_f16_sdwa v77, v12, v80 dst_sel:DWORD dst_unused:UNUSED_PAD src0_sel:WORD_1 src1_sel:DWORD
	v_mul_f16_sdwa v78, v12, v38 dst_sel:DWORD dst_unused:UNUSED_PAD src0_sel:WORD_1 src1_sel:DWORD
	;; [unrolled: 1-line block ×5, first 2 shown]
	v_lshrrev_b32_e32 v86, 16, v32
	v_lshrrev_b32_e32 v87, 16, v69
	;; [unrolled: 1-line block ×3, first 2 shown]
	v_fmac_f16_e32 v77, v12, v38
	v_fma_f16 v38, v12, v80, -v78
	v_fmac_f16_e32 v79, v13, v39
	v_fma_f16 v39, v13, v81, -v119
	v_fmac_f16_e32 v124, v14, v42
	v_mul_f16_sdwa v42, v14, v42 dst_sel:DWORD dst_unused:UNUSED_PAD src0_sel:WORD_1 src1_sel:DWORD
	v_mul_f16_sdwa v78, v15, v83 dst_sel:DWORD dst_unused:UNUSED_PAD src0_sel:WORD_1 src1_sel:DWORD
	;; [unrolled: 1-line block ×5, first 2 shown]
	v_lshrrev_b32_e32 v89, 16, v71
	v_lshrrev_b32_e32 v90, 16, v40
	v_fma_f16 v42, v14, v82, -v42
	v_fmac_f16_e32 v78, v15, v43
	v_fma_f16 v43, v15, v83, -v80
	v_fmac_f16_e32 v81, v0, v45
	v_fma_f16 v45, v0, v85, -v119
	v_mul_f16_sdwa v80, v1, v86 dst_sel:DWORD dst_unused:UNUSED_PAD src0_sel:WORD_1 src1_sel:DWORD
	v_mul_f16_sdwa v0, v1, v32 dst_sel:DWORD dst_unused:UNUSED_PAD src0_sel:WORD_1 src1_sel:DWORD
	;; [unrolled: 1-line block ×5, first 2 shown]
	v_lshrrev_b32_e32 v91, 16, v73
	v_lshrrev_b32_e32 v92, 16, v44
	;; [unrolled: 1-line block ×3, first 2 shown]
	v_fmac_f16_e32 v80, v1, v32
	v_fma_f16 v32, v1, v86, -v0
	v_fmac_f16_e32 v82, v2, v69
	v_fma_f16 v69, v2, v87, -v83
	v_fmac_f16_e32 v85, v3, v36
	v_mul_f16_sdwa v0, v3, v36 dst_sel:DWORD dst_unused:UNUSED_PAD src0_sel:WORD_1 src1_sel:DWORD
	v_mul_f16_sdwa v36, v12, v89 dst_sel:DWORD dst_unused:UNUSED_PAD src0_sel:WORD_1 src1_sel:DWORD
	v_mul_f16_sdwa v1, v12, v71 dst_sel:DWORD dst_unused:UNUSED_PAD src0_sel:WORD_1 src1_sel:DWORD
	v_mul_f16_sdwa v83, v13, v90 dst_sel:DWORD dst_unused:UNUSED_PAD src0_sel:WORD_1 src1_sel:DWORD
	v_lshrrev_b32_e32 v113, 16, v33
	v_lshrrev_b32_e32 v114, 16, v70
	v_mul_f16_sdwa v2, v13, v40 dst_sel:DWORD dst_unused:UNUSED_PAD src0_sel:WORD_1 src1_sel:DWORD
	v_fma_f16 v86, v3, v88, -v0
	v_fmac_f16_e32 v36, v12, v71
	v_fma_f16 v12, v12, v89, -v1
	v_fmac_f16_e32 v83, v13, v40
	v_mul_f16_sdwa v40, v14, v91 dst_sel:DWORD dst_unused:UNUSED_PAD src0_sel:WORD_1 src1_sel:DWORD
	v_mul_f16_sdwa v0, v14, v73 dst_sel:DWORD dst_unused:UNUSED_PAD src0_sel:WORD_1 src1_sel:DWORD
	;; [unrolled: 1-line block ×5, first 2 shown]
	v_lshrrev_b32_e32 v115, 16, v37
	v_lshrrev_b32_e32 v116, 16, v72
	;; [unrolled: 1-line block ×3, first 2 shown]
	v_fma_f16 v13, v13, v90, -v2
	v_fmac_f16_e32 v40, v14, v73
	v_fma_f16 v14, v14, v91, -v0
	v_fmac_f16_e32 v71, v15, v44
	;; [unrolled: 2-line block ×3, first 2 shown]
	v_mul_f16_sdwa v0, v4, v46 dst_sel:DWORD dst_unused:UNUSED_PAD src0_sel:WORD_1 src1_sel:DWORD
	v_mul_f16_sdwa v44, v5, v113 dst_sel:DWORD dst_unused:UNUSED_PAD src0_sel:WORD_1 src1_sel:DWORD
	;; [unrolled: 1-line block ×5, first 2 shown]
	v_lshrrev_b32_e32 v121, 16, v74
	v_lshrrev_b32_e32 v122, 16, v84
	v_fma_f16 v4, v4, v112, -v0
	v_fmac_f16_e32 v44, v5, v33
	v_fma_f16 v5, v5, v113, -v1
	v_fmac_f16_e32 v46, v6, v70
	v_fma_f16 v6, v6, v114, -v2
	v_mul_f16_sdwa v0, v7, v115 dst_sel:DWORD dst_unused:UNUSED_PAD src0_sel:WORD_1 src1_sel:DWORD
	v_mul_f16_sdwa v2, v7, v37 dst_sel:DWORD dst_unused:UNUSED_PAD src0_sel:WORD_1 src1_sel:DWORD
	;; [unrolled: 1-line block ×5, first 2 shown]
	v_fmac_f16_e32 v0, v7, v37
	v_fma_f16 v3, v7, v115, -v2
	v_fmac_f16_e32 v1, v8, v72
	v_fma_f16 v2, v8, v116, -v33
	v_fmac_f16_e32 v70, v9, v41
	v_mul_f16_sdwa v7, v9, v41 dst_sel:DWORD dst_unused:UNUSED_PAD src0_sel:WORD_1 src1_sel:DWORD
	v_mul_f16_sdwa v8, v10, v121 dst_sel:DWORD dst_unused:UNUSED_PAD src0_sel:WORD_1 src1_sel:DWORD
	;; [unrolled: 1-line block ×5, first 2 shown]
	v_fma_f16 v7, v9, v117, -v7
	v_fmac_f16_e32 v8, v10, v74
	v_fma_f16 v9, v10, v121, -v33
	v_fmac_f16_e32 v37, v11, v84
	v_fma_f16 v10, v11, v122, -v41
	v_sub_f16_e32 v11, v118, v78
	v_sub_f16_e32 v33, v24, v43
	;; [unrolled: 1-line block ×3, first 2 shown]
	v_add_f16_e32 v24, v24, v43
	v_sub_f16_e32 v84, v34, v39
	v_add_f16_e32 v31, v31, v42
	v_add_f16_e32 v34, v34, v39
	v_add_f16_e32 v39, v123, v77
	v_add_f16_e32 v41, v118, v78
	v_sub_f16_e32 v72, v120, v124
	v_mul_f16_e32 v74, 0x3924, v11
	v_mul_f16_e32 v78, 0x3924, v33
	v_sub_f16_e32 v89, v123, v77
	v_add_f16_e32 v92, v35, v38
	v_fmamk_f16 v112, v39, 0x3a21, v25
	v_add_f16_e32 v116, v31, v24
	v_sub_f16_e32 v43, v76, v79
	v_fmac_f16_e32 v74, 0x3be1, v72
	v_fmac_f16_e32 v78, 0x3be1, v73
	v_add_f16_e32 v42, v76, v79
	v_mul_f16_e32 v113, 0xb924, v89
	v_fmamk_f16 v114, v92, 0x3a21, v75
	v_fmac_f16_e32 v112, 0x318f, v41
	v_add_f16_e32 v118, v34, v116
	v_add_f16_e32 v88, v120, v124
	v_fmac_f16_e32 v74, 0x3aee, v43
	v_fmac_f16_e32 v78, 0x3aee, v84
	v_fmamk_f16 v76, v41, 0x3a21, v25
	v_sub_f16_e32 v90, v35, v38
	v_fmac_f16_e32 v113, 0x3be1, v11
	v_fmac_f16_e32 v114, 0x318f, v24
	v_fmac_f16_e32 v112, -0.5, v42
	v_add_f16_e32 v35, v35, v118
	v_fmamk_f16 v79, v24, 0x3a21, v75
	v_fmac_f16_e32 v76, 0x318f, v88
	v_fmac_f16_e32 v74, 0x3579, v89
	;; [unrolled: 1-line block ×3, first 2 shown]
	v_mul_f16_e32 v91, 0xb924, v90
	v_fmac_f16_e32 v113, 0xbaee, v43
	v_fmac_f16_e32 v114, -0.5, v34
	v_fmac_f16_e32 v112, 0xbb84, v88
	v_add_f16_e32 v115, v89, v11
	v_add_f16_e32 v117, v90, v33
	;; [unrolled: 1-line block ×4, first 2 shown]
	v_mul_f16_e32 v89, 0x3be1, v89
	v_mul_f16_e32 v90, 0x3be1, v90
	v_fmamk_f16 v88, v88, 0x3a21, v25
	v_fmac_f16_e32 v79, 0x318f, v31
	v_fmac_f16_e32 v113, 0x3579, v72
	;; [unrolled: 1-line block ×3, first 2 shown]
	v_sub_f16_e32 v115, v115, v72
	v_add_f16_e32 v124, v34, v75
	v_add_f16_e32 v38, v92, v116
	v_add_f16_e32 v35, v35, v75
	v_fmac_f16_e32 v75, 0x3a21, v31
	v_fma_f16 v31, v72, 0xb924, -v89
	v_fma_f16 v72, v73, 0xb924, -v90
	v_fmac_f16_e32 v88, 0x318f, v39
	v_fmac_f16_e32 v124, -0.5, v38
	v_fmac_f16_e32 v75, 0x318f, v92
	v_fmac_f16_e32 v31, 0x3aee, v43
	;; [unrolled: 1-line block ×3, first 2 shown]
	v_add_f16_e32 v38, v42, v119
	v_fmac_f16_e32 v88, -0.5, v42
	v_fmac_f16_e32 v76, -0.5, v42
	v_fmac_f16_e32 v91, 0x3be1, v33
	v_fmac_f16_e32 v75, -0.5, v34
	v_fmac_f16_e32 v31, 0x3579, v11
	v_fmac_f16_e32 v72, 0x3579, v33
	v_add_f16_e32 v11, v123, v38
	v_fmac_f16_e32 v88, 0xbb84, v41
	v_fmac_f16_e32 v79, -0.5, v34
	v_fmac_f16_e32 v76, 0xbb84, v39
	v_fmac_f16_e32 v91, 0xbaee, v84
	v_add_f16_e32 v118, v42, v25
	v_add_f16_e32 v121, v39, v119
	v_fmac_f16_e32 v75, 0xbb84, v24
	v_add_f16_e32 v11, v77, v11
	v_sub_f16_e32 v24, v88, v72
	v_add_f16_e32 v39, v81, v71
	v_add_f16_e32 v41, v45, v15
	;; [unrolled: 1-line block ×3, first 2 shown]
	v_sub_f16_e32 v43, v81, v71
	v_add_f16_e32 v71, v32, v14
	v_fmac_f16_e32 v79, 0xbb84, v92
	v_fmac_f16_e32 v91, 0x3579, v73
	v_sub_f16_e32 v117, v117, v73
	v_mul_f16_e32 v120, 0x3aee, v115
	v_fmac_f16_e32 v124, 0x3aee, v115
	v_add_f16_e32 v11, v11, v25
	v_fma_f16 v25, 2.0, v72, v24
	v_add_f16_e32 v72, v82, v83
	v_sub_f16_e32 v15, v45, v15
	v_add_f16_e32 v73, v69, v13
	v_add_f16_e32 v92, v42, v39
	;; [unrolled: 1-line block ×3, first 2 shown]
	v_fma_f16 v38, -2.0, v120, v124
	v_sub_f16_e32 v40, v80, v40
	v_mul_f16_e32 v45, 0x3924, v43
	v_sub_f16_e32 v14, v32, v14
	v_mul_f16_e32 v32, 0x3924, v15
	v_sub_f16_e32 v80, v85, v36
	v_sub_f16_e32 v81, v86, v12
	v_add_f16_e32 v119, v72, v92
	v_add_f16_e32 v120, v73, v115
	v_lshrrev_b32_e32 v30, 16, v26
	v_add_f16_e32 v33, v31, v75
	v_sub_f16_e32 v75, v82, v83
	v_fmac_f16_e32 v45, 0x3be1, v40
	v_sub_f16_e32 v13, v69, v13
	v_fmac_f16_e32 v32, 0x3be1, v14
	v_add_f16_e32 v82, v85, v36
	v_add_f16_e32 v83, v86, v12
	v_mul_f16_e32 v84, 0xb924, v81
	v_mul_f16_e32 v89, 0xb924, v80
	v_add_f16_e32 v85, v85, v119
	v_add_f16_e32 v86, v86, v120
	v_fmac_f16_e32 v118, -0.5, v121
	v_fmac_f16_e32 v45, 0x3aee, v75
	v_fmac_f16_e32 v32, 0x3aee, v13
	v_fmamk_f16 v88, v82, 0x3a21, v26
	v_fmac_f16_e32 v84, 0x3be1, v15
	v_fmamk_f16 v90, v83, 0x3a21, v30
	v_fmac_f16_e32 v89, 0x3be1, v43
	v_add_f16_e32 v36, v36, v85
	v_add_f16_e32 v12, v12, v86
	v_mul_f16_e32 v122, 0x3aee, v117
	v_fmac_f16_e32 v118, 0xbaee, v117
	v_fmamk_f16 v69, v39, 0x3a21, v26
	v_fmamk_f16 v77, v41, 0x3a21, v30
	v_fmac_f16_e32 v45, 0x3579, v80
	v_fmac_f16_e32 v32, 0x3579, v81
	;; [unrolled: 1-line block ×6, first 2 shown]
	v_add_f16_e32 v116, v80, v43
	v_add_f16_e32 v117, v81, v15
	;; [unrolled: 1-line block ×4, first 2 shown]
	v_mul_f16_e32 v80, 0x3be1, v80
	v_mul_f16_e32 v81, 0x3be1, v81
	v_add_f16_e32 v36, v36, v26
	v_add_f16_e32 v12, v12, v30
	v_fmac_f16_e32 v26, 0x3a21, v42
	v_fmac_f16_e32 v30, 0x3a21, v71
	v_fmac_f16_e32 v88, -0.5, v72
	v_fmac_f16_e32 v84, 0x3579, v14
	v_fmac_f16_e32 v90, -0.5, v73
	v_fmac_f16_e32 v89, 0x3579, v40
	v_sub_f16_e32 v116, v116, v40
	v_sub_f16_e32 v117, v117, v14
	v_fma_f16 v40, v40, 0xb924, -v80
	v_fma_f16 v14, v14, 0xb924, -v81
	v_fmac_f16_e32 v26, 0x318f, v82
	v_fmac_f16_e32 v30, 0x318f, v83
	;; [unrolled: 1-line block ×5, first 2 shown]
	v_add_f16_e32 v42, v83, v115
	v_fmac_f16_e32 v40, 0x3aee, v75
	v_fmac_f16_e32 v14, 0x3aee, v13
	v_fmac_f16_e32 v26, -0.5, v72
	v_fmac_f16_e32 v30, -0.5, v73
	v_fmac_f16_e32 v77, 0x318f, v71
	v_add_f16_e32 v90, v89, v90
	v_add_f16_e32 v85, v82, v92
	v_fmac_f16_e32 v121, -0.5, v42
	v_fmac_f16_e32 v40, 0x3579, v43
	v_fmac_f16_e32 v14, 0x3579, v15
	;; [unrolled: 1-line block ×4, first 2 shown]
	v_add_f16_e32 v41, v87, v37
	v_add_f16_e32 v42, v4, v10
	;; [unrolled: 1-line block ×4, first 2 shown]
	v_fmac_f16_e32 v69, -0.5, v72
	v_fmac_f16_e32 v120, -0.5, v85
	v_sub_f16_e32 v15, v26, v14
	v_add_f16_e32 v26, v40, v30
	v_fma_f16 v30, -2.0, v89, v90
	v_sub_f16_e32 v37, v87, v37
	v_add_f16_e32 v72, v46, v70
	v_sub_f16_e32 v8, v44, v8
	v_add_f16_e32 v44, v6, v7
	v_add_f16_e32 v87, v43, v41
	v_add_f16_e32 v89, v71, v42
	v_mul_f16_e32 v119, 0x3aee, v116
	v_mul_f16_e32 v13, 0x3aee, v117
	v_fmac_f16_e32 v120, 0xbaee, v117
	v_fmac_f16_e32 v121, 0x3aee, v116
	v_add_f16_e32 v116, v72, v87
	v_add_f16_e32 v117, v44, v89
	v_sub_f16_e32 v4, v4, v10
	v_mul_f16_e32 v10, 0x3924, v37
	v_sub_f16_e32 v75, v3, v2
	v_fmac_f16_e32 v77, -0.5, v73
	v_sub_f16_e32 v73, v0, v1
	v_add_f16_e32 v80, v0, v1
	v_add_f16_e32 v81, v3, v2
	;; [unrolled: 1-line block ×4, first 2 shown]
	v_fmac_f16_e32 v69, 0xbb84, v82
	v_sub_f16_e32 v46, v46, v70
	v_fmac_f16_e32 v10, 0x3be1, v8
	v_mul_f16_e32 v82, 0xb924, v75
	v_lshrrev_b32_e32 v29, 16, v23
	v_add_f16_e32 v0, v1, v0
	v_add_f16_e32 v1, v2, v3
	v_sub_f16_e32 v6, v6, v7
	v_fmac_f16_e32 v10, 0x3aee, v46
	v_fmac_f16_e32 v82, 0x3be1, v4
	;; [unrolled: 1-line block ×3, first 2 shown]
	v_fmamk_f16 v83, v80, 0x3a21, v23
	v_fma_f16 v39, -2.0, v119, v121
	v_fmamk_f16 v70, v42, 0x3a21, v29
	v_fmamk_f16 v86, v81, 0x3a21, v29
	v_add_f16_e32 v119, v44, v29
	v_mul_f16_e32 v3, 0x3be1, v73
	v_add_f16_e32 v1, v1, v29
	v_fmac_f16_e32 v29, 0x3a21, v71
	v_sub_f16_e32 v5, v5, v9
	v_mul_f16_e32 v9, 0x3924, v4
	v_fmamk_f16 v7, v41, 0x3a21, v23
	v_fmac_f16_e32 v10, 0x3579, v73
	v_mul_f16_e32 v85, 0xb924, v73
	v_fmac_f16_e32 v82, 0xbaee, v6
	v_add_f16_e32 v92, v73, v37
	v_add_f16_e32 v115, v75, v4
	v_add_f16_e32 v117, v72, v23
	v_mul_f16_e32 v73, 0x3be1, v75
	v_add_f16_e32 v0, v0, v23
	v_fmac_f16_e32 v23, 0x3a21, v43
	v_fmac_f16_e32 v83, 0x318f, v41
	v_fma_f16 v3, v8, 0xb924, -v3
	v_fmac_f16_e32 v29, 0x318f, v81
	v_fmac_f16_e32 v9, 0x3be1, v5
	;; [unrolled: 1-line block ×3, first 2 shown]
	v_sub_f16_e32 v115, v115, v5
	v_fma_f16 v5, v5, 0xb924, -v73
	v_fmac_f16_e32 v23, 0x318f, v80
	v_fmac_f16_e32 v85, 0x3be1, v37
	;; [unrolled: 1-line block ×3, first 2 shown]
	v_fmac_f16_e32 v83, -0.5, v72
	v_fmac_f16_e32 v7, 0x318f, v43
	v_fmac_f16_e32 v70, 0x318f, v71
	;; [unrolled: 1-line block ×3, first 2 shown]
	v_fmac_f16_e32 v29, -0.5, v44
	v_fmac_f16_e32 v5, 0x3aee, v6
	v_fmac_f16_e32 v23, -0.5, v72
	v_fmac_f16_e32 v85, 0xbaee, v46
	;; [unrolled: 2-line block ×3, first 2 shown]
	v_add_f16_e32 v2, v80, v87
	v_add_f16_e32 v43, v81, v89
	v_sub_f16_e32 v112, v112, v91
	v_add_f16_e32 v114, v113, v114
	v_fmac_f16_e32 v9, 0x3aee, v6
	v_fmac_f16_e32 v7, -0.5, v72
	v_fmac_f16_e32 v70, -0.5, v44
	v_sub_f16_e32 v76, v76, v78
	v_add_f16_e32 v79, v74, v79
	v_fmac_f16_e32 v3, 0x3579, v37
	v_fmac_f16_e32 v29, 0xbb84, v42
	;; [unrolled: 1-line block ×4, first 2 shown]
	v_fma_f16 v31, -2.0, v31, v33
	v_fmac_f16_e32 v85, 0x3579, v8
	v_fmac_f16_e32 v86, 0xbb84, v71
	v_sub_f16_e32 v92, v92, v8
	v_fmac_f16_e32 v117, -0.5, v2
	v_fmac_f16_e32 v119, -0.5, v43
	v_fma_f16 v91, 2.0, v91, v112
	v_fma_f16 v113, -2.0, v113, v114
	v_fma_f16 v34, 2.0, v122, v118
	v_fmac_f16_e32 v9, 0x3579, v75
	v_fmac_f16_e32 v7, 0xbb84, v80
	;; [unrolled: 1-line block ×3, first 2 shown]
	v_sub_f16_e32 v69, v69, v32
	v_add_f16_e32 v77, v45, v77
	v_sub_f16_e32 v88, v88, v84
	v_fma_f16 v78, 2.0, v78, v76
	v_fma_f16 v74, -2.0, v74, v79
	v_add_f16_e32 v6, v3, v29
	v_pack_b32_f16 v11, v11, v35
	v_pack_b32_f16 v29, v76, v79
	v_sub_f16_e32 v4, v23, v5
	v_pack_b32_f16 v35, v112, v114
	v_pack_b32_f16 v37, v118, v124
	v_sub_f16_e32 v83, v83, v82
	v_add_f16_e32 v86, v85, v86
	v_mul_f16_e32 v116, 0x3aee, v92
	v_mul_f16_e32 v2, 0x3aee, v115
	v_fmac_f16_e32 v117, 0xbaee, v115
	v_fmac_f16_e32 v119, 0x3aee, v92
	v_pack_b32_f16 v24, v24, v33
	v_pack_b32_f16 v25, v25, v31
	v_fma_f16 v13, 2.0, v13, v120
	v_fma_f16 v14, 2.0, v14, v15
	v_fma_f16 v40, -2.0, v40, v26
	v_sub_f16_e32 v7, v7, v9
	v_add_f16_e32 v70, v10, v70
	v_pack_b32_f16 v31, v34, v38
	v_pack_b32_f16 v33, v91, v113
	v_fma_f16 v32, 2.0, v32, v69
	v_fma_f16 v45, -2.0, v45, v77
	v_fma_f16 v84, 2.0, v84, v88
	ds_write2_b32 v93, v11, v29 offset1:51
	ds_write2_b32 v93, v35, v37 offset0:102 offset1:153
	ds_write2_b32 v93, v24, v25 offset0:204 offset1:255
	;; [unrolled: 1-line block ×3, first 2 shown]
	v_pack_b32_f16 v11, v78, v74
	v_pack_b32_f16 v12, v36, v12
	v_fma_f16 v5, 2.0, v5, v4
	v_fma_f16 v3, -2.0, v3, v6
	v_pack_b32_f16 v24, v69, v77
	v_pack_b32_f16 v25, v88, v90
	v_fma_f16 v82, 2.0, v82, v83
	v_fma_f16 v8, -2.0, v85, v86
	v_fma_f16 v2, 2.0, v2, v117
	v_fma_f16 v23, -2.0, v116, v119
	v_pack_b32_f16 v29, v120, v121
	v_pack_b32_f16 v15, v15, v26
	v_fma_f16 v9, 2.0, v9, v7
	v_fma_f16 v10, -2.0, v10, v70
	v_pack_b32_f16 v14, v14, v40
	v_pack_b32_f16 v13, v13, v39
	;; [unrolled: 1-line block ×6, first 2 shown]
	v_add_nc_u32_e32 v7, 0xc00, v131
	ds_write2_b32 v67, v11, v12 offset0:152 offset1:203
	ds_write2_b32 v68, v24, v25 offset0:126 offset1:177
	;; [unrolled: 1-line block ×5, first 2 shown]
	v_pack_b32_f16 v11, v83, v86
	v_pack_b32_f16 v12, v117, v119
	v_add_nc_u32_e32 v13, 0xe00, v131
	v_pack_b32_f16 v4, v4, v6
	v_pack_b32_f16 v3, v5, v3
	v_add_nc_u32_e32 v5, 0x1000, v131
	v_pack_b32_f16 v2, v2, v23
	v_pack_b32_f16 v6, v82, v8
	;; [unrolled: 1-line block ×3, first 2 shown]
	ds_write2_b32 v7, v0, v1 offset0:150 offset1:201
	ds_write2_b32 v13, v11, v12 offset0:124 offset1:175
	;; [unrolled: 1-line block ×4, first 2 shown]
	ds_write_b32 v131, v8 offset:5304
	s_waitcnt lgkmcnt(0)
	s_barrier
	buffer_gl0_inv
	ds_read2_b32 v[0:1], v93 offset1:51
	ds_read2_b32 v[2:3], v67 offset0:152 offset1:203
	ds_read2_b32 v[4:5], v65 offset0:150 offset1:201
	;; [unrolled: 1-line block ×11, first 2 shown]
	ds_read_b32 v44, v93 offset:5304
	ds_read2_b32 v[29:30], v67 offset0:50 offset1:101
	s_waitcnt lgkmcnt(13)
	v_lshrrev_b32_e32 v35, 16, v0
	s_waitcnt lgkmcnt(12)
	v_lshrrev_b32_e32 v36, 16, v3
	;; [unrolled: 2-line block ×4, first 2 shown]
	v_mul_f16_sdwa v85, v63, v3 dst_sel:DWORD dst_unused:UNUSED_PAD src0_sel:WORD_1 src1_sel:DWORD
	v_lshrrev_b32_e32 v40, 16, v5
	v_mul_f16_sdwa v83, v63, v36 dst_sel:DWORD dst_unused:UNUSED_PAD src0_sel:WORD_1 src1_sel:DWORD
	v_mul_f16_sdwa v87, v64, v37 dst_sel:DWORD dst_unused:UNUSED_PAD src0_sel:WORD_1 src1_sel:DWORD
	v_lshrrev_b32_e32 v42, 16, v7
	v_fma_f16 v36, v63, v36, -v85
	s_waitcnt lgkmcnt(8)
	v_lshrrev_b32_e32 v43, 16, v10
	v_fmac_f16_e32 v83, v63, v3
	v_mul_f16_sdwa v3, v64, v4 dst_sel:DWORD dst_unused:UNUSED_PAD src0_sel:WORD_1 src1_sel:DWORD
	v_mul_f16_sdwa v63, v61, v39 dst_sel:DWORD dst_unused:UNUSED_PAD src0_sel:WORD_1 src1_sel:DWORD
	v_fmac_f16_e32 v87, v64, v4
	v_mul_f16_sdwa v4, v61, v6 dst_sel:DWORD dst_unused:UNUSED_PAD src0_sel:WORD_1 src1_sel:DWORD
	s_waitcnt lgkmcnt(7)
	v_lshrrev_b32_e32 v46, 16, v12
	v_fma_f16 v3, v64, v37, -v3
	v_mul_f16_sdwa v37, v62, v40 dst_sel:DWORD dst_unused:UNUSED_PAD src0_sel:WORD_1 src1_sel:DWORD
	v_fmac_f16_e32 v63, v61, v6
	v_mul_f16_sdwa v6, v62, v5 dst_sel:DWORD dst_unused:UNUSED_PAD src0_sel:WORD_1 src1_sel:DWORD
	v_fma_f16 v4, v61, v39, -v4
	v_mul_f16_sdwa v39, v59, v42 dst_sel:DWORD dst_unused:UNUSED_PAD src0_sel:WORD_1 src1_sel:DWORD
	v_lshrrev_b32_e32 v69, 16, v11
	v_fmac_f16_e32 v37, v62, v5
	v_mul_f16_sdwa v5, v59, v7 dst_sel:DWORD dst_unused:UNUSED_PAD src0_sel:WORD_1 src1_sel:DWORD
	v_fma_f16 v6, v62, v40, -v6
	v_mul_f16_sdwa v40, v60, v43 dst_sel:DWORD dst_unused:UNUSED_PAD src0_sel:WORD_1 src1_sel:DWORD
	v_fmac_f16_e32 v39, v59, v7
	v_mul_f16_sdwa v7, v60, v10 dst_sel:DWORD dst_unused:UNUSED_PAD src0_sel:WORD_1 src1_sel:DWORD
	v_lshrrev_b32_e32 v71, 16, v13
	v_fma_f16 v5, v59, v42, -v5
	v_mul_f16_sdwa v42, v57, v46 dst_sel:DWORD dst_unused:UNUSED_PAD src0_sel:WORD_1 src1_sel:DWORD
	v_fmac_f16_e32 v40, v60, v10
	v_mul_f16_sdwa v10, v57, v12 dst_sel:DWORD dst_unused:UNUSED_PAD src0_sel:WORD_1 src1_sel:DWORD
	v_fma_f16 v7, v60, v43, -v7
	v_mul_f16_sdwa v43, v58, v69 dst_sel:DWORD dst_unused:UNUSED_PAD src0_sel:WORD_1 src1_sel:DWORD
	s_waitcnt lgkmcnt(5)
	v_lshrrev_b32_e32 v72, 16, v23
	s_waitcnt lgkmcnt(4)
	v_lshrrev_b32_e32 v74, 16, v25
	v_fmac_f16_e32 v42, v57, v12
	v_mul_f16_sdwa v12, v58, v11 dst_sel:DWORD dst_unused:UNUSED_PAD src0_sel:WORD_1 src1_sel:DWORD
	v_fma_f16 v10, v57, v46, -v10
	v_mul_f16_sdwa v46, v55, v71 dst_sel:DWORD dst_unused:UNUSED_PAD src0_sel:WORD_1 src1_sel:DWORD
	v_fmac_f16_e32 v43, v58, v11
	v_mul_f16_sdwa v11, v55, v13 dst_sel:DWORD dst_unused:UNUSED_PAD src0_sel:WORD_1 src1_sel:DWORD
	v_lshrrev_b32_e32 v75, 16, v24
	v_mul_f16_sdwa v57, v56, v72 dst_sel:DWORD dst_unused:UNUSED_PAD src0_sel:WORD_1 src1_sel:DWORD
	v_fmac_f16_e32 v46, v55, v13
	v_mul_f16_sdwa v13, v56, v23 dst_sel:DWORD dst_unused:UNUSED_PAD src0_sel:WORD_1 src1_sel:DWORD
	v_fma_f16 v11, v55, v71, -v11
	v_mul_f16_sdwa v55, v53, v74 dst_sel:DWORD dst_unused:UNUSED_PAD src0_sel:WORD_1 src1_sel:DWORD
	v_lshrrev_b32_e32 v77, 16, v26
	s_waitcnt lgkmcnt(3)
	v_lshrrev_b32_e32 v78, 16, v31
	v_fmac_f16_e32 v57, v56, v23
	v_mul_f16_sdwa v23, v53, v25 dst_sel:DWORD dst_unused:UNUSED_PAD src0_sel:WORD_1 src1_sel:DWORD
	v_fma_f16 v13, v56, v72, -v13
	v_mul_f16_sdwa v56, v54, v75 dst_sel:DWORD dst_unused:UNUSED_PAD src0_sel:WORD_1 src1_sel:DWORD
	v_fmac_f16_e32 v55, v53, v25
	v_mul_f16_sdwa v25, v54, v24 dst_sel:DWORD dst_unused:UNUSED_PAD src0_sel:WORD_1 src1_sel:DWORD
	s_waitcnt lgkmcnt(2)
	v_lshrrev_b32_e32 v80, 16, v33
	v_fma_f16 v23, v53, v74, -v23
	v_mul_f16_sdwa v53, v51, v77 dst_sel:DWORD dst_unused:UNUSED_PAD src0_sel:WORD_1 src1_sel:DWORD
	v_fmac_f16_e32 v56, v54, v24
	v_mul_f16_sdwa v24, v51, v26 dst_sel:DWORD dst_unused:UNUSED_PAD src0_sel:WORD_1 src1_sel:DWORD
	v_fma_f16 v25, v54, v75, -v25
	v_mul_f16_sdwa v54, v52, v78 dst_sel:DWORD dst_unused:UNUSED_PAD src0_sel:WORD_1 src1_sel:DWORD
	v_lshrrev_b32_e32 v81, 16, v32
	v_lshrrev_b32_e32 v84, 16, v34
	v_fmac_f16_e32 v53, v51, v26
	v_mul_f16_sdwa v26, v52, v31 dst_sel:DWORD dst_unused:UNUSED_PAD src0_sel:WORD_1 src1_sel:DWORD
	v_fma_f16 v24, v51, v77, -v24
	v_mul_f16_sdwa v51, v49, v80 dst_sel:DWORD dst_unused:UNUSED_PAD src0_sel:WORD_1 src1_sel:DWORD
	v_fmac_f16_e32 v54, v52, v31
	v_mul_f16_sdwa v31, v49, v33 dst_sel:DWORD dst_unused:UNUSED_PAD src0_sel:WORD_1 src1_sel:DWORD
	s_waitcnt lgkmcnt(1)
	v_lshrrev_b32_e32 v86, 16, v44
	v_fma_f16 v26, v52, v78, -v26
	v_mul_f16_sdwa v52, v50, v81 dst_sel:DWORD dst_unused:UNUSED_PAD src0_sel:WORD_1 src1_sel:DWORD
	v_fmac_f16_e32 v51, v49, v33
	v_mul_f16_sdwa v33, v50, v32 dst_sel:DWORD dst_unused:UNUSED_PAD src0_sel:WORD_1 src1_sel:DWORD
	v_fma_f16 v31, v49, v80, -v31
	v_mul_f16_sdwa v49, v47, v84 dst_sel:DWORD dst_unused:UNUSED_PAD src0_sel:WORD_1 src1_sel:DWORD
	v_fmac_f16_e32 v52, v50, v32
	v_mul_f16_sdwa v32, v47, v34 dst_sel:DWORD dst_unused:UNUSED_PAD src0_sel:WORD_1 src1_sel:DWORD
	;; [unrolled: 4-line block ×3, first 2 shown]
	v_fma_f16 v32, v47, v84, -v32
	v_add_f16_e32 v47, v83, v87
	v_fmac_f16_e32 v50, v48, v44
	v_add_f16_e32 v44, v0, v83
	v_fma_f16 v34, v48, v86, -v34
	v_add_f16_e32 v48, v36, v3
	v_fma_f16 v0, -0.5, v47, v0
	v_sub_f16_e32 v47, v36, v3
	v_add_f16_e32 v36, v35, v36
	v_lshrrev_b32_e32 v38, 16, v1
	v_fmac_f16_e32 v35, -0.5, v48
	v_sub_f16_e32 v48, v83, v87
	v_fma_f16 v12, v58, v69, -v12
	v_fmamk_f16 v58, v47, 0xbaee, v0
	v_fmac_f16_e32 v0, 0x3aee, v47
	v_add_f16_e32 v3, v36, v3
	v_add_f16_e32 v36, v63, v37
	v_fmamk_f16 v47, v48, 0x3aee, v35
	v_add_f16_e32 v59, v1, v63
	v_fmac_f16_e32 v35, 0xbaee, v48
	v_add_f16_e32 v48, v4, v6
	v_fmac_f16_e32 v1, -0.5, v36
	v_sub_f16_e32 v36, v4, v6
	v_add_f16_e32 v59, v59, v37
	v_add_f16_e32 v4, v38, v4
	v_fmac_f16_e32 v38, -0.5, v48
	v_sub_f16_e32 v37, v63, v37
	v_lshrrev_b32_e32 v41, 16, v8
	v_fmamk_f16 v48, v36, 0xbaee, v1
	v_fmac_f16_e32 v1, 0x3aee, v36
	v_add_f16_e32 v4, v4, v6
	v_add_f16_e32 v6, v39, v40
	v_fmamk_f16 v36, v37, 0x3aee, v38
	v_fmac_f16_e32 v38, 0xbaee, v37
	v_add_f16_e32 v37, v5, v7
	v_add_f16_e32 v60, v8, v39
	v_fma_f16 v6, -0.5, v6, v8
	v_sub_f16_e32 v8, v5, v7
	v_add_f16_e32 v5, v41, v5
	v_fmac_f16_e32 v41, -0.5, v37
	v_sub_f16_e32 v37, v39, v40
	v_lshrrev_b32_e32 v45, 16, v9
	v_fmamk_f16 v39, v8, 0xbaee, v6
	v_fmac_f16_e32 v6, 0x3aee, v8
	v_add_f16_e32 v5, v5, v7
	v_add_f16_e32 v7, v42, v43
	v_fmamk_f16 v8, v37, 0x3aee, v41
	v_fmac_f16_e32 v41, 0xbaee, v37
	v_add_f16_e32 v37, v10, v12
	v_add_f16_e32 v60, v60, v40
	v_add_f16_e32 v40, v9, v42
	v_fmac_f16_e32 v9, -0.5, v7
	v_sub_f16_e32 v7, v10, v12
	v_add_f16_e32 v10, v45, v10
	v_fmac_f16_e32 v45, -0.5, v37
	v_sub_f16_e32 v37, v42, v43
	v_lshrrev_b32_e32 v70, 16, v14
	v_fmamk_f16 v42, v7, 0xbaee, v9
	v_fmac_f16_e32 v9, 0x3aee, v7
	v_add_f16_e32 v7, v10, v12
	v_add_f16_e32 v10, v46, v57
	v_fmamk_f16 v12, v37, 0x3aee, v45
	v_fmac_f16_e32 v45, 0xbaee, v37
	v_add_f16_e32 v37, v11, v13
	v_add_f16_e32 v40, v40, v43
	;; [unrolled: 1-line block ×3, first 2 shown]
	v_fma_f16 v10, -0.5, v10, v14
	v_sub_f16_e32 v14, v11, v13
	v_add_f16_e32 v11, v70, v11
	v_fmac_f16_e32 v70, -0.5, v37
	v_sub_f16_e32 v37, v46, v57
	v_lshrrev_b32_e32 v73, 16, v15
	v_fmamk_f16 v46, v14, 0xbaee, v10
	v_fmac_f16_e32 v10, 0x3aee, v14
	v_add_f16_e32 v11, v11, v13
	v_add_f16_e32 v13, v55, v56
	v_fmamk_f16 v14, v37, 0x3aee, v70
	v_fmac_f16_e32 v70, 0xbaee, v37
	v_add_f16_e32 v37, v23, v25
	v_add_f16_e32 v43, v43, v57
	;; [unrolled: 1-line block ×3, first 2 shown]
	v_fmac_f16_e32 v15, -0.5, v13
	v_sub_f16_e32 v13, v23, v25
	v_add_f16_e32 v23, v73, v23
	v_fmac_f16_e32 v73, -0.5, v37
	v_sub_f16_e32 v37, v55, v56
	s_waitcnt lgkmcnt(0)
	v_lshrrev_b32_e32 v76, 16, v29
	v_fmamk_f16 v55, v13, 0xbaee, v15
	v_fmac_f16_e32 v15, 0x3aee, v13
	v_add_f16_e32 v13, v23, v25
	v_add_f16_e32 v23, v53, v54
	v_fmamk_f16 v25, v37, 0x3aee, v73
	v_fmac_f16_e32 v73, 0xbaee, v37
	v_add_f16_e32 v37, v24, v26
	v_add_f16_e32 v57, v57, v56
	;; [unrolled: 1-line block ×3, first 2 shown]
	v_fma_f16 v23, -0.5, v23, v29
	v_sub_f16_e32 v29, v24, v26
	v_add_f16_e32 v24, v76, v24
	v_fmac_f16_e32 v76, -0.5, v37
	v_sub_f16_e32 v37, v53, v54
	v_add_f16_e32 v44, v44, v87
	v_lshrrev_b32_e32 v79, 16, v30
	v_add_f16_e32 v56, v56, v54
	v_fmamk_f16 v53, v29, 0xbaee, v23
	v_fmac_f16_e32 v23, 0x3aee, v29
	v_add_f16_e32 v24, v24, v26
	v_add_f16_e32 v26, v51, v52
	v_fmamk_f16 v29, v37, 0x3aee, v76
	v_add_f16_e32 v54, v30, v51
	v_fmac_f16_e32 v76, 0xbaee, v37
	v_add_f16_e32 v37, v31, v33
	v_pack_b32_f16 v3, v44, v3
	v_pack_b32_f16 v4, v59, v4
	v_lshrrev_b32_e32 v82, 16, v2
	v_fmac_f16_e32 v30, -0.5, v26
	v_sub_f16_e32 v26, v31, v33
	v_add_f16_e32 v54, v54, v52
	v_add_f16_e32 v31, v79, v31
	v_fmac_f16_e32 v79, -0.5, v37
	v_sub_f16_e32 v37, v51, v52
	v_add_f16_e32 v52, v49, v50
	v_add_f16_e32 v61, v32, v34
	v_pack_b32_f16 v0, v0, v35
	v_pack_b32_f16 v1, v1, v38
	ds_write2_b32 v93, v3, v4 offset1:51
	v_pack_b32_f16 v3, v48, v36
	v_pack_b32_f16 v4, v60, v5
	;; [unrolled: 1-line block ×3, first 2 shown]
	v_fmamk_f16 v51, v26, 0xbaee, v30
	v_fmac_f16_e32 v30, 0x3aee, v26
	v_add_f16_e32 v26, v31, v33
	v_add_f16_e32 v33, v2, v49
	v_fmac_f16_e32 v2, -0.5, v52
	v_sub_f16_e32 v52, v32, v34
	v_add_f16_e32 v32, v82, v32
	v_pack_b32_f16 v7, v40, v7
	v_pack_b32_f16 v6, v6, v41
	;; [unrolled: 1-line block ×3, first 2 shown]
	v_fmac_f16_e32 v82, -0.5, v61
	v_sub_f16_e32 v49, v49, v50
	ds_write2_b32 v65, v0, v1 offset0:150 offset1:201
	ds_write2_b32 v68, v3, v5 offset0:126 offset1:177
	;; [unrolled: 1-line block ×3, first 2 shown]
	v_pack_b32_f16 v0, v42, v12
	v_pack_b32_f16 v3, v46, v14
	v_fmamk_f16 v31, v37, 0x3aee, v79
	v_fmac_f16_e32 v79, 0xbaee, v37
	v_pack_b32_f16 v1, v43, v11
	v_pack_b32_f16 v5, v57, v13
	v_add_f16_e32 v33, v33, v50
	v_add_f16_e32 v32, v32, v34
	ds_write2_b32 v28, v6, v8 offset0:124 offset1:175
	v_pack_b32_f16 v4, v10, v70
	v_pack_b32_f16 v6, v15, v73
	v_fmamk_f16 v37, v52, 0xbaee, v2
	v_fmamk_f16 v34, v49, 0x3aee, v82
	v_pack_b32_f16 v7, v55, v25
	v_pack_b32_f16 v8, v53, v29
	v_fmac_f16_e32 v2, 0x3aee, v52
	v_fmac_f16_e32 v82, 0xbaee, v49
	ds_write2_b32 v66, v0, v3 offset0:100 offset1:151
	ds_write2_b32 v93, v1, v5 offset0:204 offset1:255
	ds_write2_b32 v27, v4, v6 offset0:98 offset1:149
	v_pack_b32_f16 v0, v56, v24
	v_pack_b32_f16 v3, v54, v26
	;; [unrolled: 1-line block ×6, first 2 shown]
	ds_write2_b32 v66, v7, v8 offset0:202 offset1:253
	v_pack_b32_f16 v4, v51, v31
	v_pack_b32_f16 v7, v37, v34
	;; [unrolled: 1-line block ×3, first 2 shown]
	ds_write2_b32 v67, v0, v3 offset0:50 offset1:101
	ds_write2_b32 v27, v1, v5 offset0:200 offset1:251
	;; [unrolled: 1-line block ×4, first 2 shown]
	ds_write_b32 v93, v2 offset:5304
	s_waitcnt lgkmcnt(0)
	s_barrier
	buffer_gl0_inv
	ds_read2_b32 v[0:1], v93 offset1:81
	s_waitcnt lgkmcnt(0)
	v_lshrrev_b32_e32 v2, 16, v0
	v_lshrrev_b32_e32 v12, 16, v1
	v_mul_f16_sdwa v3, v111, v2 dst_sel:DWORD dst_unused:UNUSED_PAD src0_sel:WORD_1 src1_sel:DWORD
	v_mul_f16_sdwa v13, v110, v12 dst_sel:DWORD dst_unused:UNUSED_PAD src0_sel:WORD_1 src1_sel:DWORD
	v_fmac_f16_e32 v3, v111, v0
	v_mul_f16_sdwa v0, v111, v0 dst_sel:DWORD dst_unused:UNUSED_PAD src0_sel:WORD_1 src1_sel:DWORD
	v_fmac_f16_e32 v13, v110, v1
	v_cvt_f32_f16_e32 v3, v3
	v_fma_f16 v0, v111, v2, -v0
	v_cvt_f64_f32_e32 v[2:3], v3
	v_cvt_f32_f16_e32 v0, v0
	v_cvt_f64_f32_e32 v[4:5], v0
	v_mul_f64 v[2:3], v[2:3], s[4:5]
	v_mul_f64 v[4:5], v[4:5], s[4:5]
	v_and_or_b32 v0, 0x1ff, v3, v2
	v_lshrrev_b32_e32 v2, 8, v3
	v_bfe_u32 v6, v3, 20, 11
	v_cmp_ne_u32_e64 s0, 0, v0
	v_and_or_b32 v4, 0x1ff, v5, v4
	v_lshrrev_b32_e32 v7, 8, v5
	v_bfe_u32 v10, v5, 20, 11
	v_add_nc_u32_e32 v15, 0xfffffc10, v6
	v_cndmask_b32_e64 v0, 0, 1, s0
	v_cmp_ne_u32_e64 s0, 0, v4
	v_lshrrev_b32_e32 v5, 16, v5
	v_cmp_gt_i32_e64 s2, 31, v15
	v_and_or_b32 v2, 0xffe, v2, v0
	v_sub_nc_u32_e32 v0, 0x3f1, v6
	v_cndmask_b32_e64 v4, 0, 1, s0
	v_or_b32_e32 v8, 0x1000, v2
	v_med3_i32 v0, v0, 0, 13
	v_and_or_b32 v4, 0xffe, v7, v4
	v_sub_nc_u32_e32 v7, 0x3f1, v10
	v_lshl_or_b32 v23, v15, 12, v2
	v_lshrrev_b32_e32 v9, v0, v8
	v_or_b32_e32 v11, 0x1000, v4
	v_med3_i32 v7, v7, 0, 13
	v_lshlrev_b32_e32 v0, v0, v9
	v_lshrrev_b32_e32 v14, v7, v11
	v_cmp_ne_u32_e64 s0, v0, v8
	v_cvt_f32_f16_e32 v8, v13
	v_lshlrev_b32_e32 v13, v7, v14
	v_mad_u64_u32 v[6:7], null, s10, v22, 0
	v_cndmask_b32_e64 v0, 0, 1, s0
	v_cmp_ne_u32_e64 s0, v13, v11
	v_add_nc_u32_e32 v13, 0xfffffc10, v10
	v_or_b32_e32 v0, v9, v0
	v_cvt_f64_f32_e32 v[8:9], v8
	v_cndmask_b32_e64 v11, 0, 1, s0
	v_cmp_gt_i32_e64 s0, 1, v15
	v_cndmask_b32_e64 v23, v23, v0, s0
	v_mov_b32_e32 v0, v7
	v_or_b32_e32 v7, v14, v11
	v_lshl_or_b32 v14, v13, 12, v4
	v_cmp_gt_i32_e64 s0, 1, v13
	v_and_b32_e32 v24, 7, v23
	v_mad_u64_u32 v[10:11], null, s11, v22, v[0:1]
	v_mul_f16_sdwa v0, v110, v1 dst_sel:DWORD dst_unused:UNUSED_PAD src0_sel:WORD_1 src1_sel:DWORD
	v_cndmask_b32_e64 v7, v14, v7, s0
	v_cmp_lt_i32_e64 s0, 5, v24
	v_cmp_eq_u32_e64 s1, 3, v24
	v_lshrrev_b32_e32 v11, 2, v23
	v_fma_f16 v12, v110, v12, -v0
	v_and_b32_e32 v14, 7, v7
	v_mul_f64 v[0:1], v[8:9], s[4:5]
	s_or_b32 s0, s1, s0
	v_add_co_ci_u32_e64 v9, s0, 0, v11, s0
	v_cmp_ne_u32_e64 s0, 0, v2
	v_cmp_eq_u32_e64 s1, 3, v14
	v_lshrrev_b32_e32 v11, 2, v7
	v_cvt_f32_f16_e32 v8, v12
	v_cndmask_b32_e64 v9, 0x7c00, v9, s2
	v_cndmask_b32_e64 v2, 0, 1, s0
	v_cmp_lt_i32_e64 s0, 5, v14
	v_cvt_f64_f32_e32 v[7:8], v8
	v_lshl_or_b32 v2, v2, 9, 0x7c00
	s_or_b32 s0, s1, s0
	v_add_co_ci_u32_e64 v11, s0, 0, v11, s0
	v_cmp_eq_u32_e64 s0, 0x40f, v15
	v_lshrrev_b32_e32 v15, 16, v3
	v_and_or_b32 v0, 0x1ff, v1, v0
	v_lshrrev_b32_e32 v23, 8, v1
	v_bfe_u32 v24, v1, 20, 11
	v_cndmask_b32_e64 v14, v9, v2, s0
	v_cmp_gt_i32_e64 s0, 31, v13
	v_mad_u64_u32 v[2:3], null, s8, v109, 0
	v_cndmask_b32_e64 v22, 0x7c00, v11, s0
	v_cmp_ne_u32_e64 s0, 0, v4
	ds_read2_b32 v[11:12], v93 offset0:162 offset1:243
	v_mul_f64 v[8:9], v[7:8], s[4:5]
	v_sub_nc_u32_e32 v7, 0x3f1, v24
	v_cndmask_b32_e64 v4, 0, 1, s0
	v_cmp_ne_u32_e64 s0, 0, v0
	v_med3_i32 v25, v7, 0, 13
	v_lshl_or_b32 v4, v4, 9, 0x7c00
	v_cndmask_b32_e64 v0, 0, 1, s0
	v_cmp_eq_u32_e64 s0, 0x40f, v13
	v_mov_b32_e32 v7, v10
	v_and_or_b32 v23, 0xffe, v23, v0
	v_cndmask_b32_e64 v13, v22, v4, s0
	v_mov_b32_e32 v0, v3
	v_or_b32_e32 v22, 0x1000, v23
	v_and_or_b32 v10, 0x8000, v5, v13
	v_mad_u64_u32 v[3:4], null, s9, v109, v[0:1]
	v_and_or_b32 v4, 0x8000, v15, v14
	v_lshrrev_b32_e32 v0, v25, v22
	s_waitcnt lgkmcnt(0)
	v_lshrrev_b32_e32 v14, 16, v11
	v_lshrrev_b32_e32 v1, 16, v1
	v_and_b32_e32 v13, 0xffff, v4
	v_lshlrev_b32_e32 v5, v25, v0
	v_and_or_b32 v4, 0x1ff, v9, v8
	v_mul_f16_sdwa v15, v108, v14 dst_sel:DWORD dst_unused:UNUSED_PAD src0_sel:WORD_1 src1_sel:DWORD
	v_add_nc_u32_e32 v8, 0xfffffc10, v24
	v_bfe_u32 v24, v9, 20, 11
	v_cmp_ne_u32_e64 s0, v5, v22
	v_lshrrev_b32_e32 v22, 8, v9
	v_fmac_f16_e32 v15, v108, v11
	v_lshl_or_b32 v10, v10, 16, v13
	v_lshlrev_b64 v[2:3], 2, v[2:3]
	v_cndmask_b32_e64 v5, 0, 1, s0
	v_cmp_ne_u32_e64 s0, 0, v4
	v_cvt_f32_f16_e32 v15, v15
	v_lshrrev_b32_e32 v9, 16, v9
	v_or_b32_e32 v0, v0, v5
	v_cndmask_b32_e64 v4, 0, 1, s0
	v_lshl_or_b32 v5, v8, 12, v23
	v_cmp_gt_i32_e64 s0, 1, v8
	v_and_or_b32 v22, 0xffe, v22, v4
	v_sub_nc_u32_e32 v4, 0x3f1, v24
	v_cndmask_b32_e64 v0, v5, v0, s0
	v_or_b32_e32 v25, 0x1000, v22
	v_med3_i32 v26, v4, 0, 13
	v_lshlrev_b64 v[4:5], 2, v[6:7]
	v_cvt_f64_f32_e32 v[6:7], v15
	v_and_b32_e32 v13, 7, v0
	v_lshrrev_b32_e32 v0, 2, v0
	v_lshrrev_b32_e32 v15, v26, v25
	v_add_co_u32 v29, s0, s6, v4
	v_add_co_ci_u32_e64 v30, s0, s7, v5, s0
	v_lshlrev_b32_e32 v4, v26, v15
	v_cmp_lt_i32_e64 s0, 5, v13
	v_cmp_eq_u32_e64 s1, 3, v13
	v_mul_f16_sdwa v5, v108, v11 dst_sel:DWORD dst_unused:UNUSED_PAD src0_sel:WORD_1 src1_sel:DWORD
	v_add_nc_u32_e32 v11, 0xfffffc10, v24
	v_cmp_ne_u32_e64 s2, v4, v25
	s_or_b32 s0, s1, s0
	v_fma_f16 v13, v108, v14, -v5
	v_add_co_ci_u32_e64 v0, s0, 0, v0, s0
	v_cndmask_b32_e64 v4, 0, 1, s2
	v_cmp_ne_u32_e64 s0, 0, v23
	s_mul_i32 s2, s8, 0x51
	v_or_b32_e32 v14, v15, v4
	v_lshl_or_b32 v15, v11, 12, v22
	v_mul_f64 v[4:5], v[6:7], s[4:5]
	v_cvt_f32_f16_e32 v6, v13
	v_cndmask_b32_e64 v13, 0, 1, s0
	v_cmp_gt_i32_e64 s0, 1, v11
	v_cvt_f64_f32_e32 v[6:7], v6
	v_lshl_or_b32 v13, v13, 9, 0x7c00
	v_cndmask_b32_e64 v14, v15, v14, s0
	v_cmp_gt_i32_e64 s0, 31, v8
	v_and_b32_e32 v15, 7, v14
	v_cndmask_b32_e64 v0, 0x7c00, v0, s0
	v_add_co_u32 v2, s0, v29, v2
	v_add_co_ci_u32_e64 v3, s0, v30, v3, s0
	v_cmp_eq_u32_e64 s0, 0x40f, v8
	v_cmp_eq_u32_e64 s1, 3, v15
	v_lshrrev_b32_e32 v8, 2, v14
	v_and_or_b32 v4, 0x1ff, v5, v4
	global_store_dword v[2:3], v10, off
	v_cndmask_b32_e64 v0, v0, v13, s0
	v_cmp_lt_i32_e64 s0, 5, v15
	v_bfe_u32 v13, v5, 20, 11
	v_lshrrev_b32_e32 v14, 16, v12
	v_and_or_b32 v10, 0x8000, v1, v0
	s_or_b32 s0, s1, s0
	v_mul_f64 v[0:1], v[6:7], s[4:5]
	v_add_co_ci_u32_e64 v8, s0, 0, v8, s0
	v_cmp_ne_u32_e64 s0, 0, v22
	v_lshrrev_b32_e32 v7, 8, v5
	s_mul_hi_u32 s1, s8, 0x51
	v_and_b32_e32 v10, 0xffff, v10
	v_cndmask_b32_e64 v6, 0, 1, s0
	v_cmp_ne_u32_e64 s0, 0, v4
	v_lshl_or_b32 v6, v6, 9, 0x7c00
	v_cndmask_b32_e64 v4, 0, 1, s0
	v_cmp_gt_i32_e64 s0, 31, v11
	v_and_or_b32 v4, 0xffe, v7, v4
	v_cndmask_b32_e64 v8, 0x7c00, v8, s0
	v_sub_nc_u32_e32 v7, 0x3f1, v13
	v_cmp_eq_u32_e64 s0, 0x40f, v11
	v_mul_f16_sdwa v11, v107, v14 dst_sel:DWORD dst_unused:UNUSED_PAD src0_sel:WORD_1 src1_sel:DWORD
	v_and_or_b32 v0, 0x1ff, v1, v0
	v_bfe_u32 v23, v1, 20, 11
	v_med3_i32 v7, v7, 0, 13
	v_cndmask_b32_e64 v6, v8, v6, s0
	v_or_b32_e32 v8, 0x1000, v4
	v_fmac_f16_e32 v11, v107, v12
	s_mul_i32 s0, s9, 0x51
	v_add_nc_u32_e32 v13, 0xfffffc10, v13
	v_and_or_b32 v9, 0x8000, v9, v6
	v_lshrrev_b32_e32 v15, v7, v8
	s_add_i32 s3, s1, s0
	v_cvt_f32_f16_e32 v6, v11
	v_cmp_ne_u32_e64 s0, 0, v0
	v_lshrrev_b32_e32 v11, 8, v1
	v_lshlrev_b32_e32 v22, v7, v15
	v_mul_f16_sdwa v12, v107, v12 dst_sel:DWORD dst_unused:UNUSED_PAD src0_sel:WORD_1 src1_sel:DWORD
	v_cvt_f64_f32_e32 v[6:7], v6
	v_cndmask_b32_e64 v0, 0, 1, s0
	v_lshl_or_b32 v10, v9, 16, v10
	v_cmp_ne_u32_e64 s0, v22, v8
	v_fma_f16 v12, v107, v14, -v12
	s_lshl_b64 s[6:7], s[2:3], 2
	v_and_or_b32 v0, 0xffe, v11, v0
	v_sub_nc_u32_e32 v11, 0x3f1, v23
	v_cndmask_b32_e64 v8, 0, 1, s0
	v_cmp_gt_i32_e64 s0, 1, v13
	v_lshrrev_b32_e32 v1, 16, v1
	v_or_b32_e32 v22, 0x1000, v0
	v_med3_i32 v11, v11, 0, 13
	v_or_b32_e32 v8, v15, v8
	v_lshl_or_b32 v15, v13, 12, v4
	v_cndmask_b32_e64 v14, v15, v8, s0
	v_cvt_f32_f16_e32 v8, v12
	v_lshrrev_b32_e32 v15, v11, v22
	v_mul_f64 v[6:7], v[6:7], s[4:5]
	v_add_co_u32 v2, s0, v2, s6
	v_and_b32_e32 v12, 7, v14
	v_cvt_f64_f32_e32 v[8:9], v8
	v_lshlrev_b32_e32 v11, v11, v15
	v_add_co_ci_u32_e64 v3, s0, s7, v3, s0
	v_cmp_lt_i32_e64 s0, 5, v12
	v_cmp_eq_u32_e64 s1, 3, v12
	v_lshrrev_b32_e32 v12, 2, v14
	v_cmp_ne_u32_e64 s2, v11, v22
	v_add_nc_u32_e32 v14, 0xfffffc10, v23
	global_store_dword v[2:3], v10, off
	s_or_b32 s0, s1, s0
	v_add_co_ci_u32_e64 v12, s0, 0, v12, s0
	v_cndmask_b32_e64 v11, 0, 1, s2
	v_cmp_gt_i32_e64 s0, 31, v13
	v_cmp_eq_u32_e64 s2, 0x40f, v13
	v_and_or_b32 v6, 0x1ff, v7, v6
	v_or_b32_e32 v11, v15, v11
	v_lshl_or_b32 v15, v14, 12, v0
	v_cndmask_b32_e64 v12, 0x7c00, v12, s0
	v_cmp_gt_i32_e64 s0, 1, v14
	v_mul_f64 v[8:9], v[8:9], s[4:5]
	v_lshrrev_b32_e32 v23, 8, v7
	v_bfe_u32 v24, v7, 20, 11
	v_cndmask_b32_e64 v15, v15, v11, s0
	v_cmp_ne_u32_e64 s0, 0, v4
	ds_read2_b32 v[10:11], v67 offset0:68 offset1:149
	v_and_b32_e32 v22, 7, v15
	v_cndmask_b32_e64 v4, 0, 1, s0
	v_cmp_ne_u32_e64 s0, 0, v6
	v_cmp_eq_u32_e64 s1, 3, v22
	v_lshl_or_b32 v4, v4, 9, 0x7c00
	v_cndmask_b32_e64 v6, 0, 1, s0
	v_cmp_lt_i32_e64 s0, 5, v22
	v_sub_nc_u32_e32 v22, 0x3f1, v24
	v_cndmask_b32_e64 v12, v12, v4, s2
	v_lshrrev_b32_e32 v4, 2, v15
	v_and_or_b32 v6, 0xffe, v23, v6
	s_or_b32 s0, s1, s0
	v_med3_i32 v15, v22, 0, 13
	v_and_or_b32 v8, 0x1ff, v9, v8
	v_add_co_ci_u32_e64 v4, s0, 0, v4, s0
	v_or_b32_e32 v13, 0x1000, v6
	v_cmp_gt_i32_e64 s0, 31, v14
	v_lshrrev_b32_e32 v22, 16, v5
	s_waitcnt lgkmcnt(0)
	v_lshrrev_b32_e32 v25, 16, v10
	v_bfe_u32 v29, v9, 20, 11
	v_lshrrev_b32_e32 v5, v15, v13
	v_cndmask_b32_e64 v23, 0x7c00, v4, s0
	v_cmp_ne_u32_e64 s0, 0, v8
	v_mul_f16_sdwa v26, v106, v25 dst_sel:DWORD dst_unused:UNUSED_PAD src0_sel:WORD_1 src1_sel:DWORD
	v_and_or_b32 v12, 0x8000, v22, v12
	v_lshlrev_b32_e32 v4, v15, v5
	v_lshrrev_b32_e32 v15, 8, v9
	v_cndmask_b32_e64 v8, 0, 1, s0
	v_cmp_ne_u32_e64 s0, 0, v0
	v_fmac_f16_e32 v26, v106, v10
	v_and_b32_e32 v12, 0xffff, v12
	v_lshrrev_b32_e32 v9, 16, v9
	v_and_or_b32 v8, 0xffe, v15, v8
	v_cndmask_b32_e64 v0, 0, 1, s0
	v_cmp_ne_u32_e64 s0, v4, v13
	v_sub_nc_u32_e32 v15, 0x3f1, v29
	v_add_nc_u32_e32 v13, 0xfffffc10, v24
	v_cvt_f32_f16_e32 v24, v26
	v_lshl_or_b32 v0, v0, 9, 0x7c00
	v_cndmask_b32_e64 v4, 0, 1, s0
	v_cmp_eq_u32_e64 s0, 0x40f, v14
	v_or_b32_e32 v26, 0x1000, v8
	v_med3_i32 v15, v15, 0, 13
	v_or_b32_e32 v30, v5, v4
	v_cvt_f64_f32_e32 v[4:5], v24
	v_cndmask_b32_e64 v0, v23, v0, s0
	v_lshl_or_b32 v24, v13, 12, v6
	v_lshrrev_b32_e32 v31, v15, v26
	v_cmp_gt_i32_e64 s0, 1, v13
	v_and_or_b32 v22, 0x8000, v1, v0
	v_mul_f16_sdwa v0, v106, v10 dst_sel:DWORD dst_unused:UNUSED_PAD src0_sel:WORD_1 src1_sel:DWORD
	v_lshlrev_b32_e32 v15, v15, v31
	v_cndmask_b32_e64 v14, v24, v30, s0
	v_lshl_or_b32 v12, v22, 16, v12
	v_fma_f16 v0, v106, v25, -v0
	v_cmp_ne_u32_e64 s0, v15, v26
	v_and_b32_e32 v1, 7, v14
	v_add_nc_u32_e32 v15, 0xfffffc10, v29
	v_lshrrev_b32_e32 v14, 2, v14
	v_cvt_f32_f16_e32 v24, v0
	v_cndmask_b32_e64 v10, 0, 1, s0
	v_cmp_lt_i32_e64 s0, 5, v1
	v_cmp_eq_u32_e64 s1, 3, v1
	v_lshl_or_b32 v23, v15, 12, v8
	v_mul_f64 v[0:1], v[4:5], s[4:5]
	v_cvt_f64_f32_e32 v[4:5], v24
	v_or_b32_e32 v10, v31, v10
	s_or_b32 s0, s1, s0
	v_cmp_gt_i32_e64 s2, 1, v15
	v_add_co_ci_u32_e64 v14, s0, 0, v14, s0
	v_cmp_ne_u32_e64 s0, 0, v6
	v_cndmask_b32_e64 v10, v23, v10, s2
	v_cmp_eq_u32_e64 s2, 0x40f, v13
	v_cndmask_b32_e64 v6, 0, 1, s0
	v_cmp_gt_i32_e64 s0, 31, v13
	v_and_b32_e32 v23, 7, v10
	v_lshl_or_b32 v6, v6, 9, 0x7c00
	v_cndmask_b32_e64 v14, 0x7c00, v14, s0
	v_cmp_lt_i32_e64 s0, 5, v23
	v_cmp_eq_u32_e64 s1, 3, v23
	v_and_or_b32 v0, 0x1ff, v1, v0
	v_cndmask_b32_e64 v13, v14, v6, s2
	v_lshrrev_b32_e32 v6, 2, v10
	v_mul_f64 v[4:5], v[4:5], s[4:5]
	s_or_b32 s0, s1, s0
	v_lshrrev_b32_e32 v14, 16, v11
	v_lshrrev_b32_e32 v10, 16, v7
	v_add_co_ci_u32_e64 v6, s0, 0, v6, s0
	v_cmp_ne_u32_e64 s0, 0, v0
	v_lshrrev_b32_e32 v7, 8, v1
	v_bfe_u32 v22, v1, 20, 11
	v_mul_f16_sdwa v23, v105, v14 dst_sel:DWORD dst_unused:UNUSED_PAD src0_sel:WORD_1 src1_sel:DWORD
	v_and_or_b32 v10, 0x8000, v10, v13
	v_cndmask_b32_e64 v0, 0, 1, s0
	v_cmp_ne_u32_e64 s0, 0, v8
	v_fmac_f16_e32 v23, v105, v11
	v_and_b32_e32 v10, 0xffff, v10
	v_and_or_b32 v0, 0xffe, v7, v0
	v_cndmask_b32_e64 v8, 0, 1, s0
	v_cmp_gt_i32_e64 s0, 31, v15
	v_sub_nc_u32_e32 v7, 0x3f1, v22
	v_add_nc_u32_e32 v22, 0xfffffc10, v22
	v_or_b32_e32 v24, 0x1000, v0
	v_lshl_or_b32 v8, v8, 9, 0x7c00
	v_cndmask_b32_e64 v6, 0x7c00, v6, s0
	v_cmp_eq_u32_e64 s0, 0x40f, v15
	v_med3_i32 v25, v7, 0, 13
	v_cvt_f32_f16_e32 v7, v23
	v_and_or_b32 v4, 0x1ff, v5, v4
	v_lshrrev_b32_e32 v13, 8, v5
	v_cndmask_b32_e64 v8, v6, v8, s0
	v_add_co_u32 v2, s0, v2, s6
	v_add_co_ci_u32_e64 v3, s0, s7, v3, s0
	v_cvt_f64_f32_e32 v[6:7], v7
	v_cmp_ne_u32_e64 s0, 0, v4
	v_lshrrev_b32_e32 v15, v25, v24
	v_bfe_u32 v23, v5, 20, 11
	v_and_or_b32 v8, 0x8000, v9, v8
	v_mul_f16_sdwa v11, v105, v11 dst_sel:DWORD dst_unused:UNUSED_PAD src0_sel:WORD_1 src1_sel:DWORD
	v_cndmask_b32_e64 v4, 0, 1, s0
	v_lshlrev_b32_e32 v9, v25, v15
	global_store_dword v[2:3], v12, off
	v_lshl_or_b32 v10, v8, 16, v10
	v_add_nc_u32_e32 v12, 0xfffffc10, v23
	v_and_or_b32 v4, 0xffe, v13, v4
	v_sub_nc_u32_e32 v13, 0x3f1, v23
	v_cmp_ne_u32_e64 s0, v9, v24
	v_cmp_gt_i32_e64 s2, 31, v22
	v_lshrrev_b32_e32 v5, 16, v5
	v_or_b32_e32 v24, 0x1000, v4
	v_med3_i32 v13, v13, 0, 13
	v_cndmask_b32_e64 v9, 0, 1, s0
	v_cmp_gt_i32_e64 s0, 1, v22
	v_lshrrev_b32_e32 v25, v13, v24
	v_or_b32_e32 v9, v15, v9
	v_lshl_or_b32 v15, v22, 12, v0
	v_mul_f64 v[6:7], v[6:7], s[4:5]
	v_lshlrev_b32_e32 v13, v13, v25
	v_cndmask_b32_e64 v15, v15, v9, s0
	v_add_co_u32 v8, s0, v2, s6
	v_fma_f16 v2, v105, v14, -v11
	v_cmp_ne_u32_e64 s1, v13, v24
	v_and_b32_e32 v26, 7, v15
	v_add_co_ci_u32_e64 v9, s0, s7, v3, s0
	v_cvt_f32_f16_e32 v2, v2
	v_cndmask_b32_e64 v3, 0, 1, s1
	v_cmp_lt_i32_e64 s0, 5, v26
	v_cmp_eq_u32_e64 s1, 3, v26
	global_store_dword v[8:9], v10, off
	v_lshrrev_b32_e32 v10, 2, v15
	v_or_b32_e32 v11, v25, v3
	v_cvt_f64_f32_e32 v[2:3], v2
	s_or_b32 s0, s1, s0
	v_lshl_or_b32 v13, v12, 12, v4
	v_add_co_ci_u32_e64 v14, s0, 0, v10, s0
	v_and_or_b32 v6, 0x1ff, v7, v6
	v_cmp_gt_i32_e64 s0, 1, v12
	v_lshrrev_b32_e32 v10, 8, v7
	v_bfe_u32 v15, v7, 20, 11
	v_cndmask_b32_e64 v14, 0x7c00, v14, s2
	v_cndmask_b32_e64 v13, v13, v11, s0
	v_cmp_ne_u32_e64 s0, 0, v6
	v_sub_nc_u32_e32 v24, 0x3f1, v15
	v_add_nc_u32_e32 v15, 0xfffffc10, v15
	v_and_b32_e32 v23, 7, v13
	v_cndmask_b32_e64 v6, 0, 1, s0
	v_cmp_ne_u32_e64 s0, 0, v0
	v_lshrrev_b32_e32 v13, 2, v13
	v_med3_i32 v24, v24, 0, 13
	v_cmp_eq_u32_e64 s1, 3, v23
	v_and_or_b32 v6, 0xffe, v10, v6
	ds_read2_b32 v[10:11], v68 offset0:102 offset1:183
	v_cndmask_b32_e64 v0, 0, 1, s0
	v_cmp_lt_i32_e64 s0, 5, v23
	v_mul_f64 v[2:3], v[2:3], s[4:5]
	v_or_b32_e32 v23, 0x1000, v6
	v_lshl_or_b32 v0, v0, 9, 0x7c00
	s_or_b32 s0, s1, s0
	v_add_co_ci_u32_e64 v13, s0, 0, v13, s0
	v_cmp_eq_u32_e64 s0, 0x40f, v22
	v_lshrrev_b32_e32 v25, v24, v23
	v_lshrrev_b32_e32 v22, 16, v1
	v_cndmask_b32_e64 v14, v14, v0, s0
	v_cmp_gt_i32_e64 s0, 31, v12
	v_lshlrev_b32_e32 v0, v24, v25
	s_waitcnt lgkmcnt(0)
	v_lshrrev_b32_e32 v24, 16, v10
	v_and_or_b32 v14, 0x8000, v22, v14
	v_cndmask_b32_e64 v13, 0x7c00, v13, s0
	v_cmp_ne_u32_e64 s0, 0, v4
	v_mul_f16_sdwa v4, v104, v24 dst_sel:DWORD dst_unused:UNUSED_PAD src0_sel:WORD_1 src1_sel:DWORD
	v_and_or_b32 v2, 0x1ff, v3, v2
	v_bfe_u32 v26, v3, 20, 11
	v_cndmask_b32_e64 v1, 0, 1, s0
	v_cmp_ne_u32_e64 s0, v0, v23
	v_fmac_f16_e32 v4, v104, v10
	v_lshl_or_b32 v23, v1, 9, 0x7c00
	v_cndmask_b32_e64 v0, 0, 1, s0
	v_cmp_ne_u32_e64 s0, 0, v2
	v_lshl_or_b32 v1, v15, 12, v6
	v_cvt_f32_f16_e32 v4, v4
	v_or_b32_e32 v0, v25, v0
	v_cndmask_b32_e64 v2, 0, 1, s0
	v_cmp_gt_i32_e64 s0, 1, v15
	v_lshrrev_b32_e32 v25, 8, v3
	v_cndmask_b32_e64 v29, v1, v0, s0
	v_cvt_f64_f32_e32 v[0:1], v4
	v_cmp_eq_u32_e64 s0, 0x40f, v12
	v_and_or_b32 v2, 0xffe, v25, v2
	v_sub_nc_u32_e32 v25, 0x3f1, v26
	v_and_b32_e32 v12, 7, v29
	v_cndmask_b32_e64 v4, v13, v23, s0
	v_or_b32_e32 v13, 0x1000, v2
	v_med3_i32 v23, v25, 0, 13
	v_cmp_lt_i32_e64 s0, 5, v12
	v_cmp_eq_u32_e64 s1, 3, v12
	v_and_or_b32 v22, 0x8000, v5, v4
	v_mul_f16_sdwa v4, v104, v10 dst_sel:DWORD dst_unused:UNUSED_PAD src0_sel:WORD_1 src1_sel:DWORD
	v_lshrrev_b32_e32 v10, v23, v13
	v_lshrrev_b32_e32 v5, 2, v29
	v_and_b32_e32 v12, 0xffff, v14
	s_or_b32 s0, s1, s0
	v_fma_f16 v4, v104, v24, -v4
	v_lshlrev_b32_e32 v14, v23, v10
	v_add_co_ci_u32_e64 v23, s0, 0, v5, s0
	v_lshl_or_b32 v12, v22, 16, v12
	v_cvt_f32_f16_e32 v4, v4
	v_cmp_ne_u32_e64 s0, v14, v13
	v_mul_f64 v[0:1], v[0:1], s[4:5]
	v_add_nc_u32_e32 v14, 0xfffffc10, v26
	v_cvt_f64_f32_e32 v[4:5], v4
	v_cndmask_b32_e64 v13, 0, 1, s0
	v_cmp_ne_u32_e64 s0, 0, v6
	v_or_b32_e32 v10, v10, v13
	v_cndmask_b32_e64 v6, 0, 1, s0
	v_cmp_gt_i32_e64 s0, 31, v15
	v_lshl_or_b32 v13, v14, 12, v2
	v_lshl_or_b32 v6, v6, 9, 0x7c00
	v_cndmask_b32_e64 v23, 0x7c00, v23, s0
	v_cmp_gt_i32_e64 s0, 1, v14
	v_cndmask_b32_e64 v10, v13, v10, s0
	v_cmp_eq_u32_e64 s0, 0x40f, v15
	v_and_or_b32 v0, 0x1ff, v1, v0
	v_mul_f64 v[4:5], v[4:5], s[4:5]
	v_lshrrev_b32_e32 v15, 16, v7
	v_and_b32_e32 v22, 7, v10
	v_cndmask_b32_e64 v13, v23, v6, s0
	v_add_co_u32 v6, s0, v8, s6
	v_cmp_ne_u32_e64 s2, 0, v0
	v_add_co_ci_u32_e64 v7, s0, s7, v9, s0
	v_cmp_lt_i32_e64 s0, 5, v22
	v_cmp_eq_u32_e64 s1, 3, v22
	v_lshrrev_b32_e32 v9, 2, v10
	v_and_or_b32 v8, 0x8000, v15, v13
	v_cndmask_b32_e64 v0, 0, 1, s2
	v_lshrrev_b32_e32 v10, 8, v1
	v_bfe_u32 v13, v1, 20, 11
	s_or_b32 s0, s1, s0
	v_lshrrev_b32_e32 v15, 16, v11
	v_add_co_ci_u32_e64 v9, s0, 0, v9, s0
	v_and_or_b32 v0, 0xffe, v10, v0
	v_sub_nc_u32_e32 v10, 0x3f1, v13
	v_cmp_ne_u32_e64 s0, 0, v2
	v_mul_f16_sdwa v23, v103, v15 dst_sel:DWORD dst_unused:UNUSED_PAD src0_sel:WORD_1 src1_sel:DWORD
	v_and_or_b32 v4, 0x1ff, v5, v4
	v_or_b32_e32 v22, 0x1000, v0
	v_med3_i32 v10, v10, 0, 13
	v_cndmask_b32_e64 v2, 0, 1, s0
	v_cmp_gt_i32_e64 s0, 31, v14
	v_fmac_f16_e32 v23, v103, v11
	v_bfe_u32 v25, v5, 20, 11
	v_lshrrev_b32_e32 v24, v10, v22
	v_lshl_or_b32 v2, v2, 9, 0x7c00
	v_cndmask_b32_e64 v9, 0x7c00, v9, s0
	v_cmp_eq_u32_e64 s0, 0x40f, v14
	v_lshrrev_b32_e32 v14, 16, v3
	v_lshlrev_b32_e32 v10, v10, v24
	v_add_nc_u32_e32 v13, 0xfffffc10, v13
	v_mul_f16_sdwa v11, v103, v11 dst_sel:DWORD dst_unused:UNUSED_PAD src0_sel:WORD_1 src1_sel:DWORD
	v_cndmask_b32_e64 v9, v9, v2, s0
	v_cmp_ne_u32_e64 s0, 0, v4
	v_cvt_f32_f16_e32 v2, v23
	v_lshrrev_b32_e32 v23, 8, v5
	v_and_b32_e32 v8, 0xffff, v8
	v_and_or_b32 v9, 0x8000, v14, v9
	v_cndmask_b32_e64 v4, 0, 1, s0
	v_cmp_ne_u32_e64 s0, v10, v22
	v_cvt_f64_f32_e32 v[2:3], v2
	v_sub_nc_u32_e32 v22, 0x3f1, v25
	v_lshl_or_b32 v14, v13, 12, v0
	v_and_or_b32 v4, 0xffe, v23, v4
	v_cndmask_b32_e64 v10, 0, 1, s0
	v_cmp_gt_i32_e64 s0, 1, v13
	v_med3_i32 v22, v22, 0, 13
	v_fma_f16 v11, v103, v15, -v11
	v_or_b32_e32 v23, 0x1000, v4
	v_or_b32_e32 v10, v24, v10
	global_store_dword v[6:7], v12, off
	v_lshl_or_b32 v12, v9, 16, v8
	v_cvt_f32_f16_e32 v8, v11
	v_lshrrev_b32_e32 v5, 16, v5
	v_cndmask_b32_e64 v10, v14, v10, s0
	v_lshrrev_b32_e32 v14, v22, v23
	v_add_co_u32 v6, s0, v6, s6
	v_add_co_ci_u32_e64 v7, s0, s7, v7, s0
	v_lshlrev_b32_e32 v22, v22, v14
	v_and_b32_e32 v15, 7, v10
	v_mul_f64 v[2:3], v[2:3], s[4:5]
	v_cvt_f64_f32_e32 v[8:9], v8
	v_lshrrev_b32_e32 v10, 2, v10
	v_cmp_ne_u32_e64 s1, v22, v23
	v_cmp_lt_i32_e64 s0, 5, v15
	v_add_nc_u32_e32 v22, 0xfffffc10, v25
	global_store_dword v[6:7], v12, off
	v_cndmask_b32_e64 v11, 0, 1, s1
	v_cmp_eq_u32_e64 s1, 3, v15
	v_lshl_or_b32 v12, v22, 12, v4
	v_or_b32_e32 v11, v14, v11
	s_or_b32 s0, s1, s0
	v_add_co_ci_u32_e64 v10, s0, 0, v10, s0
	v_cmp_ne_u32_e64 s0, 0, v0
	v_and_or_b32 v2, 0x1ff, v3, v2
	v_cndmask_b32_e64 v0, 0, 1, s0
	v_cmp_gt_i32_e64 s0, 1, v22
	v_mul_f64 v[8:9], v[8:9], s[4:5]
	v_lshrrev_b32_e32 v23, 8, v3
	v_bfe_u32 v24, v3, 20, 11
	v_lshl_or_b32 v0, v0, 9, 0x7c00
	v_cndmask_b32_e64 v12, v12, v11, s0
	v_cmp_gt_i32_e64 s0, 31, v13
	v_and_b32_e32 v15, 7, v12
	v_cndmask_b32_e64 v14, 0x7c00, v10, s0
	v_cmp_ne_u32_e64 s0, 0, v2
	ds_read2_b32 v[10:11], v66 offset0:136 offset1:217
	v_cmp_eq_u32_e64 s1, 3, v15
	v_cndmask_b32_e64 v2, 0, 1, s0
	v_cmp_eq_u32_e64 s0, 0x40f, v13
	v_and_or_b32 v2, 0xffe, v23, v2
	v_cndmask_b32_e64 v13, v14, v0, s0
	v_cmp_lt_i32_e64 s0, 5, v15
	v_lshrrev_b32_e32 v14, 16, v1
	v_lshrrev_b32_e32 v1, 2, v12
	v_sub_nc_u32_e32 v0, 0x3f1, v24
	v_or_b32_e32 v12, 0x1000, v2
	s_or_b32 s0, s1, s0
	v_and_or_b32 v8, 0x1ff, v9, v8
	v_add_co_ci_u32_e64 v1, s0, 0, v1, s0
	v_med3_i32 v0, v0, 0, 13
	v_cmp_ne_u32_e64 s0, 0, v4
	s_waitcnt lgkmcnt(0)
	v_lshrrev_b32_e32 v23, 16, v10
	v_lshrrev_b32_e32 v26, 8, v9
	v_bfe_u32 v29, v9, 20, 11
	v_lshrrev_b32_e32 v15, v0, v12
	v_cndmask_b32_e64 v4, 0, 1, s0
	v_cmp_gt_i32_e64 s0, 31, v22
	v_and_or_b32 v13, 0x8000, v14, v13
	v_lshrrev_b32_e32 v9, 16, v9
	v_lshlrev_b32_e32 v0, v0, v15
	v_lshl_or_b32 v4, v4, 9, 0x7c00
	v_cndmask_b32_e64 v25, 0x7c00, v1, s0
	v_cmp_ne_u32_e64 s0, 0, v8
	v_mul_f16_sdwa v1, v102, v23 dst_sel:DWORD dst_unused:UNUSED_PAD src0_sel:WORD_1 src1_sel:DWORD
	v_and_b32_e32 v13, 0xffff, v13
	v_cndmask_b32_e64 v8, 0, 1, s0
	v_cmp_ne_u32_e64 s0, v0, v12
	v_fmac_f16_e32 v1, v102, v10
	v_add_nc_u32_e32 v12, 0xfffffc10, v24
	v_sub_nc_u32_e32 v24, 0x3f1, v29
	v_and_or_b32 v8, 0xffe, v26, v8
	v_cndmask_b32_e64 v0, 0, 1, s0
	v_cvt_f32_f16_e32 v1, v1
	v_lshl_or_b32 v26, v12, 12, v2
	v_med3_i32 v24, v24, 0, 13
	v_or_b32_e32 v30, 0x1000, v8
	v_or_b32_e32 v15, v15, v0
	v_cmp_gt_i32_e64 s0, 1, v12
	v_cvt_f64_f32_e32 v[0:1], v1
	v_mul_f16_sdwa v10, v102, v10 dst_sel:DWORD dst_unused:UNUSED_PAD src0_sel:WORD_1 src1_sel:DWORD
	v_cndmask_b32_e64 v15, v26, v15, s0
	v_cmp_eq_u32_e64 s0, 0x40f, v22
	v_lshrrev_b32_e32 v22, v24, v30
	v_and_b32_e32 v14, 7, v15
	v_cndmask_b32_e64 v4, v25, v4, s0
	v_lshlrev_b32_e32 v24, v24, v22
	v_cmp_lt_i32_e64 s0, 5, v14
	v_and_or_b32 v25, 0x8000, v5, v4
	v_cmp_ne_u32_e64 s1, v24, v30
	v_fma_f16 v4, v102, v23, -v10
	v_add_nc_u32_e32 v10, 0xfffffc10, v29
	v_lshl_or_b32 v13, v25, 16, v13
	v_cndmask_b32_e64 v5, 0, 1, s1
	v_cmp_eq_u32_e64 s1, 3, v14
	v_lshrrev_b32_e32 v14, 2, v15
	v_cvt_f32_f16_e32 v4, v4
	v_mul_f64 v[0:1], v[0:1], s[4:5]
	v_or_b32_e32 v15, v22, v5
	s_or_b32 s0, s1, s0
	v_lshl_or_b32 v22, v10, 12, v8
	v_add_co_ci_u32_e64 v14, s0, 0, v14, s0
	v_cmp_ne_u32_e64 s0, 0, v2
	v_cvt_f64_f32_e32 v[4:5], v4
	v_cndmask_b32_e64 v2, 0, 1, s0
	v_cmp_gt_i32_e64 s0, 1, v10
	v_lshl_or_b32 v2, v2, 9, 0x7c00
	v_cndmask_b32_e64 v15, v22, v15, s0
	v_cmp_gt_i32_e64 s0, 31, v12
	v_and_or_b32 v0, 0x1ff, v1, v0
	v_cndmask_b32_e64 v14, 0x7c00, v14, s0
	v_add_co_u32 v6, s0, v6, s6
	v_add_co_ci_u32_e64 v7, s0, s7, v7, s0
	v_cmp_eq_u32_e64 s0, 0x40f, v12
	v_and_b32_e32 v22, 7, v15
	v_cmp_ne_u32_e64 s2, 0, v0
	v_lshrrev_b32_e32 v15, 2, v15
	v_bfe_u32 v23, v1, 20, 11
	v_cndmask_b32_e64 v12, v14, v2, s0
	v_lshrrev_b32_e32 v14, 16, v3
	v_mul_f64 v[2:3], v[4:5], s[4:5]
	v_cmp_lt_i32_e64 s0, 5, v22
	v_cmp_eq_u32_e64 s1, 3, v22
	v_lshrrev_b32_e32 v22, 16, v11
	v_cndmask_b32_e64 v0, 0, 1, s2
	v_lshrrev_b32_e32 v4, 8, v1
	v_and_or_b32 v12, 0x8000, v14, v12
	s_or_b32 s0, s1, s0
	v_mul_f16_sdwa v5, v101, v22 dst_sel:DWORD dst_unused:UNUSED_PAD src0_sel:WORD_1 src1_sel:DWORD
	v_add_co_ci_u32_e64 v15, s0, 0, v15, s0
	v_and_or_b32 v0, 0xffe, v4, v0
	v_sub_nc_u32_e32 v4, 0x3f1, v23
	v_cmp_ne_u32_e64 s0, 0, v8
	v_fmac_f16_e32 v5, v101, v11
	v_add_nc_u32_e32 v23, 0xfffffc10, v23
	v_or_b32_e32 v24, 0x1000, v0
	v_med3_i32 v25, v4, 0, 13
	v_cndmask_b32_e64 v8, 0, 1, s0
	v_cmp_gt_i32_e64 s0, 31, v10
	v_cvt_f32_f16_e32 v4, v5
	v_and_b32_e32 v12, 0xffff, v12
	v_lshrrev_b32_e32 v26, v25, v24
	v_lshl_or_b32 v8, v8, 9, 0x7c00
	v_cndmask_b32_e64 v15, 0x7c00, v15, s0
	v_and_or_b32 v2, 0x1ff, v3, v2
	v_cmp_eq_u32_e64 s0, 0x40f, v10
	v_cvt_f64_f32_e32 v[4:5], v4
	v_lshlrev_b32_e32 v10, v25, v26
	v_lshrrev_b32_e32 v14, 8, v3
	v_mul_f16_sdwa v11, v101, v11 dst_sel:DWORD dst_unused:UNUSED_PAD src0_sel:WORD_1 src1_sel:DWORD
	v_cndmask_b32_e64 v8, v15, v8, s0
	v_cmp_ne_u32_e64 s0, 0, v2
	v_bfe_u32 v15, v3, 20, 11
	global_store_dword v[6:7], v13, off
	v_fma_f16 v11, v101, v22, -v11
	v_and_or_b32 v8, 0x8000, v9, v8
	v_cndmask_b32_e64 v2, 0, 1, s0
	v_cmp_ne_u32_e64 s0, v10, v24
	v_lshl_or_b32 v24, v23, 12, v0
	v_cvt_f32_f16_e32 v11, v11
	v_lshl_or_b32 v12, v8, 16, v12
	v_and_or_b32 v2, 0xffe, v14, v2
	v_cndmask_b32_e64 v10, 0, 1, s0
	v_sub_nc_u32_e32 v14, 0x3f1, v15
	v_cmp_gt_i32_e64 s0, 1, v23
	v_lshrrev_b32_e32 v1, 16, v1
	v_or_b32_e32 v9, 0x1000, v2
	v_or_b32_e32 v10, v26, v10
	v_med3_i32 v14, v14, 0, 13
	v_mul_f64 v[4:5], v[4:5], s[4:5]
	v_cndmask_b32_e64 v10, v24, v10, s0
	v_lshrrev_b32_e32 v24, v14, v9
	v_and_b32_e32 v25, 7, v10
	v_lshlrev_b32_e32 v8, v14, v24
	v_lshrrev_b32_e32 v10, 2, v10
	v_add_nc_u32_e32 v14, 0xfffffc10, v15
	v_cmp_lt_i32_e64 s0, 5, v25
	v_cmp_eq_u32_e64 s1, 3, v25
	v_cmp_ne_u32_e64 s2, v8, v9
	v_cvt_f64_f32_e32 v[8:9], v11
	v_lshl_or_b32 v11, v14, 12, v2
	s_or_b32 s0, s1, s0
	v_cndmask_b32_e64 v13, 0, 1, s2
	v_add_co_ci_u32_e64 v15, s0, 0, v10, s0
	v_cmp_ne_u32_e64 s0, 0, v0
	v_and_or_b32 v4, 0x1ff, v5, v4
	v_or_b32_e32 v10, v24, v13
	v_lshrrev_b32_e32 v22, 8, v5
	v_bfe_u32 v24, v5, 20, 11
	v_cndmask_b32_e64 v0, 0, 1, s0
	v_cmp_gt_i32_e64 s0, 1, v14
	v_lshl_or_b32 v0, v0, 9, 0x7c00
	v_cndmask_b32_e64 v13, v11, v10, s0
	v_cmp_ne_u32_e64 s0, 0, v4
	ds_read2_b32 v[10:11], v65 offset0:42 offset1:123
	v_mul_f64 v[8:9], v[8:9], s[4:5]
	v_and_b32_e32 v25, 7, v13
	v_cndmask_b32_e64 v4, 0, 1, s0
	v_cmp_gt_i32_e64 s0, 31, v23
	v_cmp_eq_u32_e64 s1, 3, v25
	v_and_or_b32 v4, 0xffe, v22, v4
	v_cndmask_b32_e64 v15, 0x7c00, v15, s0
	v_cmp_eq_u32_e64 s0, 0x40f, v23
	v_sub_nc_u32_e32 v22, 0x3f1, v24
	v_cndmask_b32_e64 v0, v15, v0, s0
	v_cmp_lt_i32_e64 s0, 5, v25
	v_or_b32_e32 v15, 0x1000, v4
	v_med3_i32 v22, v22, 0, 13
	v_and_or_b32 v23, 0x8000, v1, v0
	v_lshrrev_b32_e32 v0, 2, v13
	s_or_b32 s0, s1, s0
	v_lshrrev_b32_e32 v25, v22, v15
	s_waitcnt lgkmcnt(0)
	v_lshrrev_b32_e32 v13, 16, v10
	v_bfe_u32 v29, v9, 20, 11
	v_add_co_ci_u32_e64 v0, s0, 0, v0, s0
	v_cmp_ne_u32_e64 s0, 0, v2
	v_lshlrev_b32_e32 v22, v22, v25
	v_mul_f16_sdwa v1, v100, v13 dst_sel:DWORD dst_unused:UNUSED_PAD src0_sel:WORD_1 src1_sel:DWORD
	v_cndmask_b32_e64 v2, 0, 1, s0
	v_cmp_gt_i32_e64 s0, 31, v14
	v_fmac_f16_e32 v1, v100, v10
	v_mul_f16_sdwa v10, v100, v10 dst_sel:DWORD dst_unused:UNUSED_PAD src0_sel:WORD_1 src1_sel:DWORD
	v_lshl_or_b32 v2, v2, 9, 0x7c00
	v_cndmask_b32_e64 v26, 0x7c00, v0, s0
	v_and_or_b32 v0, 0x1ff, v9, v8
	v_cmp_ne_u32_e64 s0, v22, v15
	v_cvt_f32_f16_e32 v1, v1
	v_add_nc_u32_e32 v15, 0xfffffc10, v24
	v_lshrrev_b32_e32 v24, 8, v9
	v_lshrrev_b32_e32 v9, 16, v9
	v_cndmask_b32_e64 v8, 0, 1, s0
	v_cmp_ne_u32_e64 s0, 0, v0
	v_cvt_f64_f32_e32 v[0:1], v1
	v_cndmask_b32_e64 v22, 0, 1, s0
	v_cmp_eq_u32_e64 s0, 0x40f, v14
	v_and_or_b32 v22, 0xffe, v24, v22
	v_sub_nc_u32_e32 v24, 0x3f1, v29
	v_cndmask_b32_e64 v14, v26, v2, s0
	v_or_b32_e32 v2, v25, v8
	v_lshl_or_b32 v8, v15, 12, v4
	v_cmp_gt_i32_e64 s0, 1, v15
	v_or_b32_e32 v26, 0x1000, v22
	v_med3_i32 v24, v24, 0, 13
	v_lshrrev_b32_e32 v25, 16, v3
	v_cndmask_b32_e64 v8, v8, v2, s0
	v_add_co_u32 v2, s0, v6, s6
	v_add_co_ci_u32_e64 v3, s0, s7, v7, s0
	v_lshrrev_b32_e32 v7, v24, v26
	v_and_or_b32 v6, 0x8000, v25, v14
	v_and_b32_e32 v14, 0xffff, v23
	v_and_b32_e32 v23, 7, v8
	v_mul_f64 v[0:1], v[0:1], s[4:5]
	v_lshlrev_b32_e32 v24, v24, v7
	v_lshrrev_b32_e32 v8, 2, v8
	v_lshl_or_b32 v14, v6, 16, v14
	v_fma_f16 v6, v100, v13, -v10
	v_cmp_lt_i32_e64 s0, 5, v23
	v_cmp_ne_u32_e64 s1, v24, v26
	global_store_dword v[2:3], v12, off
	v_add_nc_u32_e32 v12, 0xfffffc10, v29
	v_cvt_f32_f16_e32 v6, v6
	v_cndmask_b32_e64 v10, 0, 1, s1
	v_cmp_eq_u32_e64 s1, 3, v23
	v_lshl_or_b32 v13, v12, 12, v22
	v_or_b32_e32 v10, v7, v10
	s_or_b32 s0, s1, s0
	v_cvt_f64_f32_e32 v[6:7], v6
	v_add_co_ci_u32_e64 v8, s0, 0, v8, s0
	v_cmp_ne_u32_e64 s0, 0, v4
	v_and_or_b32 v0, 0x1ff, v1, v0
	v_lshrrev_b32_e32 v23, 8, v1
	v_bfe_u32 v24, v1, 20, 11
	v_cndmask_b32_e64 v4, 0, 1, s0
	v_cmp_gt_i32_e64 s0, 1, v12
	v_lshl_or_b32 v4, v4, 9, 0x7c00
	v_cndmask_b32_e64 v10, v13, v10, s0
	v_cmp_gt_i32_e64 s0, 31, v15
	v_and_b32_e32 v13, 7, v10
	v_cndmask_b32_e64 v8, 0x7c00, v8, s0
	v_cmp_ne_u32_e64 s0, 0, v0
	v_cmp_eq_u32_e64 s1, 3, v13
	v_cndmask_b32_e64 v0, 0, 1, s0
	v_cmp_eq_u32_e64 s0, 0x40f, v15
	v_lshrrev_b32_e32 v15, 16, v5
	v_and_or_b32 v0, 0xffe, v23, v0
	v_cndmask_b32_e64 v8, v8, v4, s0
	v_cmp_lt_i32_e64 s0, 5, v13
	v_mul_f64 v[4:5], v[6:7], s[4:5]
	v_lshrrev_b32_e32 v6, 2, v10
	v_sub_nc_u32_e32 v23, 0x3f1, v24
	v_or_b32_e32 v7, 0x1000, v0
	s_or_b32 s0, s1, s0
	v_lshrrev_b32_e32 v13, 16, v11
	v_add_co_ci_u32_e64 v6, s0, 0, v6, s0
	v_med3_i32 v10, v23, 0, 13
	v_cmp_ne_u32_e64 s0, 0, v22
	v_mul_f16_sdwa v25, v99, v13 dst_sel:DWORD dst_unused:UNUSED_PAD src0_sel:WORD_1 src1_sel:DWORD
	v_and_or_b32 v8, 0x8000, v15, v8
	v_add_nc_u32_e32 v15, 0xfffffc10, v24
	v_lshrrev_b32_e32 v23, v10, v7
	v_cndmask_b32_e64 v22, 0, 1, s0
	v_cmp_gt_i32_e64 s0, 31, v12
	v_fmac_f16_e32 v25, v99, v11
	v_and_b32_e32 v8, 0xffff, v8
	v_lshlrev_b32_e32 v10, v10, v23
	v_lshl_or_b32 v22, v22, 9, 0x7c00
	v_cndmask_b32_e64 v6, 0x7c00, v6, s0
	v_cmp_eq_u32_e64 s0, 0x40f, v12
	v_and_or_b32 v4, 0x1ff, v5, v4
	v_bfe_u32 v24, v5, 20, 11
	v_mul_f16_sdwa v11, v99, v11 dst_sel:DWORD dst_unused:UNUSED_PAD src0_sel:WORD_1 src1_sel:DWORD
	v_cndmask_b32_e64 v12, v6, v22, s0
	v_cmp_ne_u32_e64 s0, v10, v7
	v_cvt_f32_f16_e32 v6, v25
	v_lshrrev_b32_e32 v22, 8, v5
	v_fma_f16 v11, v99, v13, -v11
	v_and_or_b32 v9, 0x8000, v9, v12
	v_cndmask_b32_e64 v10, 0, 1, s0
	v_cmp_ne_u32_e64 s0, 0, v4
	v_cvt_f64_f32_e32 v[6:7], v6
	v_lshl_or_b32 v12, v15, 12, v0
	v_cvt_f32_f16_e32 v11, v11
	v_or_b32_e32 v10, v23, v10
	v_cndmask_b32_e64 v4, 0, 1, s0
	v_cmp_gt_i32_e64 s0, 1, v15
	v_lshl_or_b32 v23, v9, 16, v8
	v_and_or_b32 v4, 0xffe, v22, v4
	v_sub_nc_u32_e32 v22, 0x3f1, v24
	v_cndmask_b32_e64 v10, v12, v10, s0
	v_add_co_u32 v2, s0, v2, s6
	v_or_b32_e32 v12, 0x1000, v4
	v_med3_i32 v22, v22, 0, 13
	v_add_co_ci_u32_e64 v3, s0, s7, v3, s0
	v_and_b32_e32 v25, 7, v10
	v_add_co_u32 v8, s0, v2, s6
	v_lshrrev_b32_e32 v26, v22, v12
	v_mul_f64 v[6:7], v[6:7], s[4:5]
	v_add_co_ci_u32_e64 v9, s0, s7, v3, s0
	v_cmp_lt_i32_e64 s0, 5, v25
	v_lshlrev_b32_e32 v22, v22, v26
	v_cmp_eq_u32_e64 s1, 3, v25
	v_lshrrev_b32_e32 v10, 2, v10
	v_cmp_ne_u32_e64 s2, v22, v12
	s_or_b32 s0, s1, s0
	v_add_nc_u32_e32 v22, 0xfffffc10, v24
	v_add_co_ci_u32_e64 v24, s0, 0, v10, s0
	v_cndmask_b32_e64 v12, 0, 1, s2
	v_cmp_ne_u32_e64 s0, 0, v0
	v_cvt_f64_f32_e32 v[10:11], v11
	v_or_b32_e32 v25, v26, v12
	v_lshl_or_b32 v26, v22, 12, v4
	v_cndmask_b32_e64 v0, 0, 1, s0
	v_cmp_gt_i32_e64 s0, 1, v22
	v_and_or_b32 v6, 0x1ff, v7, v6
	ds_read2_b32 v[12:13], v28 offset0:76 offset1:157
	v_lshrrev_b32_e32 v29, 8, v7
	v_lshl_or_b32 v0, v0, 9, 0x7c00
	v_cndmask_b32_e64 v25, v26, v25, s0
	v_cmp_gt_i32_e64 s0, 31, v15
	v_bfe_u32 v30, v7, 20, 11
	global_store_dword v[2:3], v14, off
	global_store_dword v[8:9], v23, off
	v_lshrrev_b32_e32 v7, 16, v7
	v_and_b32_e32 v26, 7, v25
	v_cndmask_b32_e64 v24, 0x7c00, v24, s0
	v_cmp_ne_u32_e64 s0, 0, v6
	v_cmp_eq_u32_e64 s1, 3, v26
	v_cndmask_b32_e64 v6, 0, 1, s0
	v_cmp_eq_u32_e64 s0, 0x40f, v15
	v_and_or_b32 v6, 0xffe, v29, v6
	v_cndmask_b32_e64 v15, v24, v0, s0
	v_cmp_lt_i32_e64 s0, 5, v26
	v_lshrrev_b32_e32 v24, 16, v1
	v_mul_f64 v[0:1], v[10:11], s[4:5]
	v_lshrrev_b32_e32 v11, 2, v25
	v_sub_nc_u32_e32 v29, 0x3f1, v30
	s_or_b32 s0, s1, s0
	v_or_b32_e32 v25, 0x1000, v6
	s_waitcnt lgkmcnt(0)
	v_lshrrev_b32_e32 v10, 16, v12
	v_add_co_ci_u32_e64 v11, s0, 0, v11, s0
	v_med3_i32 v26, v29, 0, 13
	v_cmp_ne_u32_e64 s0, 0, v4
	v_mul_f16_sdwa v29, v98, v10 dst_sel:DWORD dst_unused:UNUSED_PAD src0_sel:WORD_1 src1_sel:DWORD
	v_and_or_b32 v15, 0x8000, v24, v15
	v_lshrrev_b32_e32 v31, v26, v25
	v_cndmask_b32_e64 v4, 0, 1, s0
	v_cmp_gt_i32_e64 s0, 31, v22
	v_fmac_f16_e32 v29, v98, v12
	v_and_b32_e32 v15, 0xffff, v15
	v_lshlrev_b32_e32 v24, v26, v31
	v_lshl_or_b32 v4, v4, 9, 0x7c00
	v_cndmask_b32_e64 v11, 0x7c00, v11, s0
	v_cmp_eq_u32_e64 s0, 0x40f, v22
	v_and_or_b32 v0, 0x1ff, v1, v0
	v_cvt_f32_f16_e32 v26, v29
	v_lshrrev_b32_e32 v22, 16, v5
	v_bfe_u32 v29, v1, 20, 11
	v_cndmask_b32_e64 v11, v11, v4, s0
	v_cmp_ne_u32_e64 s0, v24, v25
	v_cvt_f64_f32_e32 v[4:5], v26
	v_add_nc_u32_e32 v25, 0xfffffc10, v30
	v_lshrrev_b32_e32 v26, 8, v1
	v_and_or_b32 v11, 0x8000, v22, v11
	v_cndmask_b32_e64 v24, 0, 1, s0
	v_cmp_ne_u32_e64 s0, 0, v0
	v_lshl_or_b32 v11, v11, 16, v15
	v_or_b32_e32 v22, v31, v24
	v_cndmask_b32_e64 v0, 0, 1, s0
	v_lshl_or_b32 v24, v25, 12, v6
	v_cmp_gt_i32_e64 s0, 1, v25
	v_and_or_b32 v0, 0xffe, v26, v0
	v_sub_nc_u32_e32 v26, 0x3f1, v29
	v_cndmask_b32_e64 v22, v24, v22, s0
	v_or_b32_e32 v24, 0x1000, v0
	v_med3_i32 v26, v26, 0, 13
	v_and_b32_e32 v14, 7, v22
	v_mul_f64 v[2:3], v[4:5], s[4:5]
	v_add_co_u32 v4, s0, v8, s6
	v_lshrrev_b32_e32 v15, v26, v24
	v_add_co_ci_u32_e64 v5, s0, s7, v9, s0
	v_cmp_lt_i32_e64 s0, 5, v14
	v_cmp_eq_u32_e64 s1, 3, v14
	v_lshlrev_b32_e32 v8, v26, v15
	v_mul_f16_sdwa v9, v98, v12 dst_sel:DWORD dst_unused:UNUSED_PAD src0_sel:WORD_1 src1_sel:DWORD
	v_lshrrev_b32_e32 v12, 2, v22
	global_store_dword v[4:5], v11, off
	s_or_b32 s0, s1, s0
	v_cmp_ne_u32_e64 s2, v8, v24
	v_fma_f16 v9, v98, v10, -v9
	v_add_co_ci_u32_e64 v12, s0, 0, v12, s0
	v_add_nc_u32_e32 v10, 0xfffffc10, v29
	v_cndmask_b32_e64 v8, 0, 1, s2
	v_cmp_ne_u32_e64 s0, 0, v6
	v_cvt_f32_f16_e32 v9, v9
	v_and_or_b32 v2, 0x1ff, v3, v2
	v_or_b32_e32 v14, v15, v8
	v_lshl_or_b32 v15, v10, 12, v0
	v_cndmask_b32_e64 v6, 0, 1, s0
	v_cmp_gt_i32_e64 s0, 1, v10
	v_cvt_f64_f32_e32 v[8:9], v9
	v_lshrrev_b32_e32 v22, 8, v3
	v_bfe_u32 v23, v3, 20, 11
	v_lshl_or_b32 v6, v6, 9, 0x7c00
	v_cndmask_b32_e64 v14, v15, v14, s0
	v_cmp_gt_i32_e64 s0, 31, v25
	v_and_b32_e32 v15, 7, v14
	v_cndmask_b32_e64 v12, 0x7c00, v12, s0
	v_cmp_ne_u32_e64 s0, 0, v2
	v_lshrrev_b32_e32 v14, 2, v14
	v_cmp_eq_u32_e64 s1, 3, v15
	v_cndmask_b32_e64 v2, 0, 1, s0
	v_cmp_eq_u32_e64 s0, 0x40f, v25
	v_and_or_b32 v2, 0xffe, v22, v2
	v_cndmask_b32_e64 v6, v12, v6, s0
	v_cmp_lt_i32_e64 s0, 5, v15
	v_lshrrev_b32_e32 v15, 16, v13
	v_mul_f64 v[8:9], v[8:9], s[4:5]
	v_sub_nc_u32_e32 v12, 0x3f1, v23
	v_or_b32_e32 v22, 0x1000, v2
	s_or_b32 s0, s1, s0
	v_mul_f16_sdwa v24, v97, v15 dst_sel:DWORD dst_unused:UNUSED_PAD src0_sel:WORD_1 src1_sel:DWORD
	v_add_co_ci_u32_e64 v14, s0, 0, v14, s0
	v_cmp_ne_u32_e64 s0, 0, v0
	v_med3_i32 v12, v12, 0, 13
	v_fmac_f16_e32 v24, v97, v13
	v_and_or_b32 v6, 0x8000, v7, v6
	v_mul_f16_sdwa v13, v97, v13 dst_sel:DWORD dst_unused:UNUSED_PAD src0_sel:WORD_1 src1_sel:DWORD
	v_cndmask_b32_e64 v0, 0, 1, s0
	v_cmp_gt_i32_e64 s0, 31, v10
	v_lshrrev_b32_e32 v25, v12, v22
	v_cvt_f32_f16_e32 v24, v24
	v_and_b32_e32 v6, 0xffff, v6
	v_lshl_or_b32 v0, v0, 9, 0x7c00
	v_cndmask_b32_e64 v14, 0x7c00, v14, s0
	v_cmp_eq_u32_e64 s0, 0x40f, v10
	v_lshlrev_b32_e32 v12, v12, v25
	v_and_or_b32 v8, 0x1ff, v9, v8
	v_cndmask_b32_e64 v10, v14, v0, s0
	v_lshrrev_b32_e32 v14, 16, v1
	v_cvt_f64_f32_e32 v[0:1], v24
	v_cmp_ne_u32_e64 s0, v12, v22
	v_add_nc_u32_e32 v22, 0xfffffc10, v23
	v_bfe_u32 v23, v9, 20, 11
	v_and_or_b32 v7, 0x8000, v14, v10
	v_lshrrev_b32_e32 v14, 8, v9
	v_cndmask_b32_e64 v12, 0, 1, s0
	v_cmp_ne_u32_e64 s0, 0, v8
	v_sub_nc_u32_e32 v11, 0x3f1, v23
	v_lshl_or_b32 v6, v7, 16, v6
	v_lshrrev_b32_e32 v9, 16, v9
	v_or_b32_e32 v10, v25, v12
	v_cndmask_b32_e64 v8, 0, 1, s0
	v_lshl_or_b32 v12, v22, 12, v2
	v_cmp_gt_i32_e64 s0, 1, v22
	v_med3_i32 v11, v11, 0, 13
	v_and_or_b32 v8, 0xffe, v14, v8
	v_cndmask_b32_e64 v10, v12, v10, s0
	v_add_co_u32 v4, s0, v4, s6
	v_mul_f64 v[0:1], v[0:1], s[4:5]
	v_or_b32_e32 v12, 0x1000, v8
	v_and_b32_e32 v7, 7, v10
	v_add_co_ci_u32_e64 v5, s0, s7, v5, s0
	v_lshrrev_b32_e32 v14, v11, v12
	v_cmp_lt_i32_e64 s0, 5, v7
	v_cmp_eq_u32_e64 s1, 3, v7
	global_store_dword v[4:5], v6, off
	v_lshrrev_b32_e32 v6, 2, v10
	v_lshlrev_b32_e32 v10, v11, v14
	v_fma_f16 v11, v97, v15, -v13
	s_or_b32 s0, s1, s0
	v_add_nc_u32_e32 v15, 0xfffffc10, v23
	v_add_co_ci_u32_e64 v13, s0, 0, v6, s0
	v_cmp_ne_u32_e64 s0, v10, v12
	ds_read2_b32 v[6:7], v27 offset0:110 offset1:191
	v_cvt_f32_f16_e32 v10, v11
	v_cndmask_b32_e64 v12, 0, 1, s0
	v_and_or_b32 v0, 0x1ff, v1, v0
	v_cmp_gt_i32_e64 s0, 31, v22
	v_cvt_f64_f32_e32 v[10:11], v10
	v_lshrrev_b32_e32 v23, 8, v1
	v_or_b32_e32 v12, v14, v12
	v_lshl_or_b32 v14, v15, 12, v8
	v_cndmask_b32_e64 v13, 0x7c00, v13, s0
	v_cmp_ne_u32_e64 s0, 0, v0
	v_bfe_u32 v24, v1, 20, 11
	v_cndmask_b32_e64 v0, 0, 1, s0
	v_cmp_ne_u32_e64 s0, 0, v2
	v_and_or_b32 v0, 0xffe, v23, v0
	v_cndmask_b32_e64 v2, 0, 1, s0
	v_cmp_gt_i32_e64 s0, 1, v15
	s_waitcnt lgkmcnt(0)
	v_lshrrev_b32_e32 v23, 16, v6
	v_or_b32_e32 v26, 0x1000, v0
	v_lshl_or_b32 v2, v2, 9, 0x7c00
	v_cndmask_b32_e64 v12, v14, v12, s0
	v_sub_nc_u32_e32 v14, 0x3f1, v24
	v_cmp_eq_u32_e64 s0, 0x40f, v22
	v_mul_f16_sdwa v29, v96, v23 dst_sel:DWORD dst_unused:UNUSED_PAD src0_sel:WORD_1 src1_sel:DWORD
	v_mul_f64 v[10:11], v[10:11], s[4:5]
	v_and_b32_e32 v25, 7, v12
	v_med3_i32 v14, v14, 0, 13
	v_cndmask_b32_e64 v13, v13, v2, s0
	v_lshrrev_b32_e32 v2, 2, v12
	v_fmac_f16_e32 v29, v96, v6
	v_cmp_lt_i32_e64 s0, 5, v25
	v_cmp_eq_u32_e64 s1, 3, v25
	v_lshrrev_b32_e32 v22, v14, v26
	v_lshrrev_b32_e32 v25, 16, v3
	v_cvt_f32_f16_e32 v3, v29
	v_add_nc_u32_e32 v24, 0xfffffc10, v24
	s_or_b32 s0, s1, s0
	v_lshlrev_b32_e32 v12, v14, v22
	v_add_co_ci_u32_e64 v14, s0, 0, v2, s0
	v_cmp_ne_u32_e64 s0, 0, v8
	v_cvt_f64_f32_e32 v[2:3], v3
	v_and_or_b32 v13, 0x8000, v25, v13
	v_mul_f16_sdwa v6, v96, v6 dst_sel:DWORD dst_unused:UNUSED_PAD src0_sel:WORD_1 src1_sel:DWORD
	v_lshrrev_b32_e32 v29, 16, v7
	v_cndmask_b32_e64 v8, 0, 1, s0
	v_cmp_ne_u32_e64 s0, v12, v26
	v_and_or_b32 v10, 0x1ff, v11, v10
	v_and_b32_e32 v13, 0xffff, v13
	v_fma_f16 v6, v96, v23, -v6
	v_lshl_or_b32 v8, v8, 9, 0x7c00
	v_cndmask_b32_e64 v12, 0, 1, s0
	v_cmp_gt_i32_e64 s0, 31, v15
	v_cvt_f32_f16_e32 v6, v6
	v_or_b32_e32 v12, v22, v12
	v_cndmask_b32_e64 v14, 0x7c00, v14, s0
	v_cmp_eq_u32_e64 s0, 0x40f, v15
	v_lshl_or_b32 v22, v24, 12, v0
	v_bfe_u32 v15, v11, 20, 11
	v_cndmask_b32_e64 v8, v14, v8, s0
	v_cmp_gt_i32_e64 s0, 1, v24
	v_lshrrev_b32_e32 v14, 8, v11
	v_mul_f64 v[2:3], v[2:3], s[4:5]
	v_lshrrev_b32_e32 v11, 16, v11
	v_and_or_b32 v8, 0x8000, v9, v8
	v_cndmask_b32_e64 v12, v22, v12, s0
	v_cmp_ne_u32_e64 s0, 0, v10
	v_lshl_or_b32 v13, v8, 16, v13
	v_and_b32_e32 v22, 7, v12
	v_cndmask_b32_e64 v10, 0, 1, s0
	v_lshrrev_b32_e32 v12, 2, v12
	v_cmp_lt_i32_e64 s0, 5, v22
	v_and_or_b32 v10, 0xffe, v14, v10
	v_sub_nc_u32_e32 v14, 0x3f1, v15
	v_cmp_eq_u32_e64 s1, 3, v22
	v_or_b32_e32 v9, 0x1000, v10
	v_med3_i32 v14, v14, 0, 13
	s_or_b32 s0, s1, s0
	v_and_or_b32 v2, 0x1ff, v3, v2
	v_add_co_ci_u32_e64 v12, s0, 0, v12, s0
	v_lshrrev_b32_e32 v22, v14, v9
	v_cmp_gt_i32_e64 s0, 31, v24
	v_bfe_u32 v23, v3, 20, 11
	v_lshlrev_b32_e32 v8, v14, v22
	v_cndmask_b32_e64 v12, 0x7c00, v12, s0
	v_cmp_ne_u32_e64 s0, v8, v9
	v_cvt_f64_f32_e32 v[8:9], v6
	v_add_nc_u32_e32 v6, 0xfffffc10, v15
	v_lshrrev_b32_e32 v15, 8, v3
	v_cndmask_b32_e64 v14, 0, 1, s0
	v_cmp_ne_u32_e64 s0, 0, v2
	v_or_b32_e32 v14, v22, v14
	v_cndmask_b32_e64 v2, 0, 1, s0
	v_cmp_ne_u32_e64 s0, 0, v0
	v_lshl_or_b32 v22, v6, 12, v10
	v_and_or_b32 v2, 0xffe, v15, v2
	v_cndmask_b32_e64 v0, 0, 1, s0
	v_cmp_gt_i32_e64 s0, 1, v6
	v_sub_nc_u32_e32 v15, 0x3f1, v23
	v_lshl_or_b32 v0, v0, 9, 0x7c00
	v_cndmask_b32_e64 v14, v22, v14, s0
	v_cmp_eq_u32_e64 s0, 0x40f, v24
	v_or_b32_e32 v22, 0x1000, v2
	v_med3_i32 v15, v15, 0, 13
	v_lshrrev_b32_e32 v24, 16, v1
	v_and_b32_e32 v25, 7, v14
	v_cndmask_b32_e64 v12, v12, v0, s0
	v_mul_f64 v[0:1], v[8:9], s[4:5]
	v_lshrrev_b32_e32 v26, v15, v22
	v_add_co_u32 v4, s0, v4, s6
	v_add_co_ci_u32_e64 v5, s0, s7, v5, s0
	v_lshlrev_b32_e32 v9, v15, v26
	v_mul_f16_sdwa v8, v95, v29 dst_sel:DWORD dst_unused:UNUSED_PAD src0_sel:WORD_1 src1_sel:DWORD
	v_cmp_lt_i32_e64 s0, 5, v25
	v_cmp_eq_u32_e64 s1, 3, v25
	v_lshrrev_b32_e32 v14, 2, v14
	v_cmp_ne_u32_e64 s2, v9, v22
	v_fmac_f16_e32 v8, v95, v7
	v_add_nc_u32_e32 v15, 0xfffffc10, v23
	s_or_b32 s0, s1, s0
	v_and_or_b32 v12, 0x8000, v24, v12
	v_add_co_ci_u32_e64 v14, s0, 0, v14, s0
	v_cndmask_b32_e64 v9, 0, 1, s2
	v_cmp_ne_u32_e64 s0, 0, v10
	v_cvt_f32_f16_e32 v8, v8
	v_lshl_or_b32 v23, v15, 12, v2
	v_and_or_b32 v0, 0x1ff, v1, v0
	v_or_b32_e32 v22, v26, v9
	v_cndmask_b32_e64 v10, 0, 1, s0
	v_cmp_gt_i32_e64 s0, 1, v15
	v_cvt_f64_f32_e32 v[8:9], v8
	v_bfe_u32 v24, v1, 20, 11
	v_and_b32_e32 v12, 0xffff, v12
	v_lshl_or_b32 v10, v10, 9, 0x7c00
	v_cndmask_b32_e64 v22, v23, v22, s0
	v_cmp_ne_u32_e64 s0, 0, v0
	v_lshrrev_b32_e32 v23, 8, v1
	v_mul_f16_sdwa v7, v95, v7 dst_sel:DWORD dst_unused:UNUSED_PAD src0_sel:WORD_1 src1_sel:DWORD
	v_and_b32_e32 v25, 7, v22
	v_cndmask_b32_e64 v0, 0, 1, s0
	v_cmp_gt_i32_e64 s0, 31, v6
	v_fma_f16 v7, v95, v29, -v7
	v_cmp_eq_u32_e64 s1, 3, v25
	v_and_or_b32 v0, 0xffe, v23, v0
	v_cndmask_b32_e64 v14, 0x7c00, v14, s0
	v_cmp_eq_u32_e64 s0, 0x40f, v6
	ds_read_b32 v23, v93 offset:5184
	v_cndmask_b32_e64 v6, v14, v10, s0
	v_sub_nc_u32_e32 v10, 0x3f1, v24
	v_cmp_lt_i32_e64 s0, 5, v25
	v_mul_f64 v[8:9], v[8:9], s[4:5]
	v_or_b32_e32 v14, 0x1000, v0
	v_and_or_b32 v6, 0x8000, v11, v6
	v_lshrrev_b32_e32 v11, 2, v22
	v_med3_i32 v10, v10, 0, 13
	s_or_b32 s0, s1, s0
	v_lshl_or_b32 v12, v6, 16, v12
	v_add_co_ci_u32_e64 v11, s0, 0, v11, s0
	v_lshrrev_b32_e32 v22, v10, v14
	v_cmp_ne_u32_e64 s0, 0, v2
	v_lshlrev_b32_e32 v6, v10, v22
	v_cndmask_b32_e64 v2, 0, 1, s0
	v_cmp_gt_i32_e64 s0, 31, v15
	v_lshl_or_b32 v2, v2, 9, 0x7c00
	v_cndmask_b32_e64 v10, 0x7c00, v11, s0
	v_cmp_ne_u32_e64 s0, v6, v14
	v_and_or_b32 v8, 0x1ff, v9, v8
	v_add_nc_u32_e32 v14, 0xfffffc10, v24
	v_lshrrev_b32_e32 v24, 16, v3
	v_cndmask_b32_e64 v6, 0, 1, s0
	v_cmp_eq_u32_e64 s0, 0x40f, v15
	v_lshl_or_b32 v11, v14, 12, v0
	v_lshrrev_b32_e32 v15, 8, v9
	v_cndmask_b32_e64 v10, v10, v2, s0
	v_cmp_ne_u32_e64 s0, 0, v8
	v_or_b32_e32 v2, v22, v6
	v_cvt_f32_f16_e32 v6, v7
	v_bfe_u32 v22, v9, 20, 11
	v_and_or_b32 v24, 0x8000, v24, v10
	v_cndmask_b32_e64 v8, 0, 1, s0
	v_cmp_gt_i32_e64 s0, 1, v14
	v_cvt_f64_f32_e32 v[6:7], v6
	v_lshrrev_b32_e32 v9, 16, v9
	v_and_or_b32 v8, 0xffe, v15, v8
	v_cndmask_b32_e64 v11, v11, v2, s0
	v_sub_nc_u32_e32 v2, 0x3f1, v22
	s_waitcnt lgkmcnt(0)
	v_lshrrev_b32_e32 v15, 16, v23
	v_add_nc_u32_e32 v22, 0xfffffc10, v22
	v_or_b32_e32 v26, 0x1000, v8
	v_and_b32_e32 v25, 7, v11
	v_med3_i32 v29, v2, 0, 13
	v_mul_f16_sdwa v30, v94, v15 dst_sel:DWORD dst_unused:UNUSED_PAD src0_sel:WORD_1 src1_sel:DWORD
	v_add_co_u32 v2, s0, v4, s6
	v_add_co_ci_u32_e64 v3, s0, s7, v5, s0
	v_lshrrev_b32_e32 v31, v29, v26
	v_fmac_f16_e32 v30, v94, v23
	v_cmp_lt_i32_e64 s0, 5, v25
	v_cmp_eq_u32_e64 s1, 3, v25
	v_lshrrev_b32_e32 v10, 2, v11
	v_lshlrev_b32_e32 v25, v29, v31
	v_cvt_f32_f16_e32 v11, v30
	v_mul_f64 v[6:7], v[6:7], s[4:5]
	s_or_b32 s0, s1, s0
	v_mul_f16_sdwa v23, v94, v23 dst_sel:DWORD dst_unused:UNUSED_PAD src0_sel:WORD_1 src1_sel:DWORD
	v_add_co_ci_u32_e64 v29, s0, 0, v10, s0
	v_cmp_ne_u32_e64 s0, v25, v26
	v_cvt_f64_f32_e32 v[10:11], v11
	v_lshl_or_b32 v26, v22, 12, v8
	v_fma_f16 v15, v94, v15, -v23
	v_cndmask_b32_e64 v25, 0, 1, s0
	v_cmp_ne_u32_e64 s0, 0, v0
	v_cvt_f32_f16_e32 v15, v15
	v_or_b32_e32 v25, v31, v25
	v_cndmask_b32_e64 v0, 0, 1, s0
	v_cmp_gt_i32_e64 s0, 31, v14
	v_lshl_or_b32 v0, v0, 9, 0x7c00
	v_cndmask_b32_e64 v23, 0x7c00, v29, s0
	v_cmp_gt_i32_e64 s0, 1, v22
	v_and_or_b32 v6, 0x1ff, v7, v6
	v_bfe_u32 v29, v7, 20, 11
	v_cndmask_b32_e64 v25, v26, v25, s0
	v_cmp_eq_u32_e64 s0, 0x40f, v14
	v_mul_f64 v[10:11], v[10:11], s[4:5]
	v_lshrrev_b32_e32 v26, 8, v7
	v_lshrrev_b32_e32 v7, 16, v7
	v_cndmask_b32_e64 v14, v23, v0, s0
	v_lshrrev_b32_e32 v23, 16, v1
	v_cvt_f64_f32_e32 v[0:1], v15
	v_cmp_ne_u32_e64 s0, 0, v6
	v_and_b32_e32 v15, 7, v25
	v_and_or_b32 v14, 0x8000, v23, v14
	v_and_b32_e32 v23, 0xffff, v24
	v_cndmask_b32_e64 v6, 0, 1, s0
	v_cmp_lt_i32_e64 s0, 5, v15
	v_cmp_eq_u32_e64 s1, 3, v15
	v_lshrrev_b32_e32 v15, 2, v25
	v_sub_nc_u32_e32 v24, 0x3f1, v29
	v_and_or_b32 v6, 0xffe, v26, v6
	v_lshl_or_b32 v14, v14, 16, v23
	s_or_b32 s0, s1, s0
	v_add_co_ci_u32_e64 v15, s0, 0, v15, s0
	v_or_b32_e32 v23, 0x1000, v6
	v_med3_i32 v24, v24, 0, 13
	v_cmp_ne_u32_e64 s0, 0, v8
	v_and_or_b32 v10, 0x1ff, v11, v10
	v_lshrrev_b32_e32 v26, 8, v11
	v_mul_f64 v[0:1], v[0:1], s[4:5]
	v_lshrrev_b32_e32 v25, v24, v23
	v_cndmask_b32_e64 v8, 0, 1, s0
	v_cmp_gt_i32_e64 s0, 31, v22
	v_bfe_u32 v30, v11, 20, 11
	v_lshrrev_b32_e32 v11, 16, v11
	v_lshlrev_b32_e32 v24, v24, v25
	v_lshl_or_b32 v8, v8, 9, 0x7c00
	v_cndmask_b32_e64 v15, 0x7c00, v15, s0
	v_cmp_ne_u32_e64 s0, 0, v10
	v_cndmask_b32_e64 v10, 0, 1, s0
	v_cmp_ne_u32_e64 s0, v24, v23
	v_add_nc_u32_e32 v24, 0xfffffc10, v29
	v_and_or_b32 v10, 0xffe, v26, v10
	v_cndmask_b32_e64 v23, 0, 1, s0
	v_sub_nc_u32_e32 v26, 0x3f1, v30
	v_cmp_eq_u32_e64 s0, 0x40f, v22
	v_lshl_or_b32 v22, v24, 12, v6
	v_and_or_b32 v0, 0x1ff, v1, v0
	v_bfe_u32 v29, v1, 20, 11
	v_cndmask_b32_e64 v8, v15, v8, s0
	v_or_b32_e32 v15, v25, v23
	v_or_b32_e32 v23, 0x1000, v10
	v_med3_i32 v25, v26, 0, 13
	v_cmp_gt_i32_e64 s0, 1, v24
	v_lshrrev_b32_e32 v26, 8, v1
	v_and_or_b32 v8, 0x8000, v9, v8
	v_sub_nc_u32_e32 v9, 0x3f1, v29
	v_lshrrev_b32_e32 v1, 16, v1
	v_cndmask_b32_e64 v15, v22, v15, s0
	v_lshrrev_b32_e32 v22, v25, v23
	v_cmp_ne_u32_e64 s0, 0, v0
	v_med3_i32 v9, v9, 0, 13
	v_and_b32_e32 v8, 0xffff, v8
	v_and_b32_e32 v31, 7, v15
	v_lshlrev_b32_e32 v25, v25, v22
	v_cndmask_b32_e64 v0, 0, 1, s0
	v_lshrrev_b32_e32 v15, 2, v15
	v_cmp_lt_i32_e64 s0, 5, v31
	v_cmp_ne_u32_e64 s1, v25, v23
	v_and_or_b32 v0, 0xffe, v26, v0
	v_add_nc_u32_e32 v26, 0xfffffc10, v30
	v_cndmask_b32_e64 v23, 0, 1, s1
	v_cmp_eq_u32_e64 s1, 3, v31
	v_or_b32_e32 v25, 0x1000, v0
	v_lshl_or_b32 v30, v26, 12, v10
	v_or_b32_e32 v22, v22, v23
	s_or_b32 s0, s1, s0
	v_lshrrev_b32_e32 v23, v9, v25
	v_add_co_ci_u32_e64 v15, s0, 0, v15, s0
	v_cmp_gt_i32_e64 s0, 1, v26
	v_lshlrev_b32_e32 v9, v9, v23
	v_cndmask_b32_e64 v22, v30, v22, s0
	v_cmp_ne_u32_e64 s0, 0, v6
	v_cndmask_b32_e64 v6, 0, 1, s0
	v_cmp_ne_u32_e64 s0, v9, v25
	v_add_nc_u32_e32 v25, 0xfffffc10, v29
	v_and_b32_e32 v29, 7, v22
	v_lshl_or_b32 v6, v6, 9, 0x7c00
	v_cndmask_b32_e64 v9, 0, 1, s0
	v_cmp_gt_i32_e64 s0, 31, v24
	v_cmp_gt_i32_e64 s2, 1, v25
	v_cmp_eq_u32_e64 s1, 3, v29
	v_or_b32_e32 v9, v23, v9
	v_lshl_or_b32 v23, v25, 12, v0
	v_cndmask_b32_e64 v15, 0x7c00, v15, s0
	v_cmp_lt_i32_e64 s0, 5, v29
	v_cndmask_b32_e64 v9, v23, v9, s2
	v_cmp_eq_u32_e64 s2, 0x40f, v24
	s_or_b32 s0, s1, s0
	v_cndmask_b32_e64 v6, v15, v6, s2
	v_lshrrev_b32_e32 v15, 2, v22
	v_and_b32_e32 v22, 7, v9
	v_lshrrev_b32_e32 v9, 2, v9
	v_cmp_gt_i32_e64 s2, 31, v26
	v_add_co_ci_u32_e64 v15, s0, 0, v15, s0
	v_cmp_ne_u32_e64 s0, 0, v10
	v_cmp_eq_u32_e64 s1, 3, v22
	v_cndmask_b32_e64 v15, 0x7c00, v15, s2
	v_cndmask_b32_e64 v10, 0, 1, s0
	v_cmp_lt_i32_e64 s0, 5, v22
	v_lshl_or_b32 v10, v10, 9, 0x7c00
	s_or_b32 s0, s1, s0
	v_add_co_ci_u32_e64 v9, s0, 0, v9, s0
	v_cmp_ne_u32_e64 s0, 0, v0
	v_cndmask_b32_e64 v0, 0, 1, s0
	v_cmp_eq_u32_e64 s0, 0x40f, v26
	v_lshl_or_b32 v0, v0, 9, 0x7c00
	v_cndmask_b32_e64 v10, v15, v10, s0
	v_cmp_gt_i32_e64 s0, 31, v25
	v_and_or_b32 v15, 0x8000, v7, v6
	v_and_or_b32 v10, 0x8000, v11, v10
	v_cndmask_b32_e64 v9, 0x7c00, v9, s0
	v_cmp_eq_u32_e64 s0, 0x40f, v25
	v_lshl_or_b32 v11, v15, 16, v8
	v_cndmask_b32_e64 v0, v9, v0, s0
	v_add_co_u32 v6, s0, v2, s6
	v_add_co_ci_u32_e64 v7, s0, s7, v3, s0
	v_and_or_b32 v0, 0x8000, v1, v0
	v_and_b32_e32 v1, 0xffff, v10
	v_add_co_u32 v8, s0, v6, s6
	v_add_co_ci_u32_e64 v9, s0, s7, v7, s0
	v_lshl_or_b32 v10, v0, 16, v1
	v_add_co_u32 v0, s0, v8, s6
	v_add_co_ci_u32_e64 v1, s0, s7, v9, s0
	global_store_dword v[4:5], v13, off
	global_store_dword v[2:3], v12, off
	;; [unrolled: 1-line block ×5, first 2 shown]
	s_and_b32 exec_lo, exec_lo, vcc_lo
	s_cbranch_execz .LBB0_15
; %bb.14:
	global_load_dword v4, v[20:21], off offset:204
	ds_read2_b32 v[2:3], v93 offset0:51 offset1:132
	v_mad_u64_u32 v[0:1], null, 0xffffec8c, s8, v[0:1]
	s_waitcnt lgkmcnt(0)
	v_lshrrev_b32_e32 v5, 16, v2
	s_waitcnt vmcnt(0)
	v_mul_f16_sdwa v6, v5, v4 dst_sel:DWORD dst_unused:UNUSED_PAD src0_sel:DWORD src1_sel:WORD_1
	v_mul_f16_sdwa v7, v2, v4 dst_sel:DWORD dst_unused:UNUSED_PAD src0_sel:DWORD src1_sel:WORD_1
	v_fmac_f16_e32 v6, v2, v4
	v_fma_f16 v2, v4, v5, -v7
	v_cvt_f32_f16_e32 v4, v6
	v_cvt_f32_f16_e32 v2, v2
	v_cvt_f64_f32_e32 v[4:5], v4
	v_cvt_f64_f32_e32 v[6:7], v2
	v_mul_f64 v[4:5], v[4:5], s[4:5]
	v_mul_f64 v[6:7], v[6:7], s[4:5]
	v_and_or_b32 v2, 0x1ff, v5, v4
	v_and_or_b32 v6, 0x1ff, v7, v6
	v_lshrrev_b32_e32 v4, 8, v5
	v_bfe_u32 v8, v5, 20, 11
	v_lshrrev_b32_e32 v9, 8, v7
	v_cmp_ne_u32_e32 vcc_lo, 0, v2
	v_bfe_u32 v10, v7, 20, 11
	v_lshrrev_b32_e32 v5, 16, v5
	v_sub_nc_u32_e32 v11, 0x3f1, v8
	v_add_nc_u32_e32 v8, 0xfffffc10, v8
	v_cndmask_b32_e64 v2, 0, 1, vcc_lo
	v_cmp_ne_u32_e32 vcc_lo, 0, v6
	v_lshrrev_b32_e32 v7, 16, v7
	v_and_or_b32 v2, 0xffe, v4, v2
	v_cndmask_b32_e64 v6, 0, 1, vcc_lo
	v_sub_nc_u32_e32 v4, 0x3f1, v10
	v_add_nc_u32_e32 v10, 0xfffffc10, v10
	v_and_or_b32 v6, 0xffe, v9, v6
	v_med3_i32 v9, v11, 0, 13
	v_or_b32_e32 v11, 0x1000, v2
	v_med3_i32 v4, v4, 0, 13
	v_or_b32_e32 v12, 0x1000, v6
	v_lshrrev_b32_e32 v13, v9, v11
	v_lshrrev_b32_e32 v14, v4, v12
	v_lshlrev_b32_e32 v9, v9, v13
	v_lshlrev_b32_e32 v4, v4, v14
	v_cmp_ne_u32_e32 vcc_lo, v9, v11
	v_lshl_or_b32 v11, v8, 12, v2
	v_cndmask_b32_e64 v9, 0, 1, vcc_lo
	v_cmp_ne_u32_e32 vcc_lo, v4, v12
	v_lshl_or_b32 v12, v10, 12, v6
	v_or_b32_e32 v9, v13, v9
	v_cndmask_b32_e64 v4, 0, 1, vcc_lo
	v_cmp_gt_i32_e32 vcc_lo, 1, v8
	v_or_b32_e32 v4, v14, v4
	v_cndmask_b32_e32 v9, v11, v9, vcc_lo
	v_cmp_gt_i32_e32 vcc_lo, 1, v10
	v_and_b32_e32 v11, 7, v9
	v_cndmask_b32_e32 v4, v12, v4, vcc_lo
	v_cmp_ne_u32_e32 vcc_lo, 0, v2
	v_lshrrev_b32_e32 v9, 2, v9
	v_cmp_eq_u32_e64 s0, 3, v11
	v_and_b32_e32 v12, 7, v4
	v_cndmask_b32_e64 v2, 0, 1, vcc_lo
	v_cmp_ne_u32_e32 vcc_lo, 0, v6
	v_lshrrev_b32_e32 v4, 2, v4
	v_cmp_lt_i32_e64 s1, 5, v12
	v_cmp_eq_u32_e64 s2, 3, v12
	v_cndmask_b32_e64 v6, 0, 1, vcc_lo
	v_cmp_lt_i32_e32 vcc_lo, 5, v11
	v_lshl_or_b32 v2, v2, 9, 0x7c00
	v_lshl_or_b32 v6, v6, 9, 0x7c00
	s_or_b32 vcc_lo, s0, vcc_lo
	s_mul_i32 s0, s9, 0xffffec8c
	v_add_co_ci_u32_e32 v9, vcc_lo, 0, v9, vcc_lo
	s_or_b32 vcc_lo, s2, s1
	s_sub_i32 s0, s0, s8
	v_add_co_ci_u32_e32 v4, vcc_lo, 0, v4, vcc_lo
	v_cmp_gt_i32_e32 vcc_lo, 31, v8
	v_add_nc_u32_e32 v1, s0, v1
	v_cndmask_b32_e32 v9, 0x7c00, v9, vcc_lo
	v_cmp_gt_i32_e32 vcc_lo, 31, v10
	v_cndmask_b32_e32 v4, 0x7c00, v4, vcc_lo
	v_cmp_eq_u32_e32 vcc_lo, 0x40f, v8
	v_cndmask_b32_e32 v2, v9, v2, vcc_lo
	v_cmp_eq_u32_e32 vcc_lo, 0x40f, v10
	v_and_or_b32 v2, 0x8000, v5, v2
	v_cndmask_b32_e32 v4, v4, v6, vcc_lo
	v_and_b32_e32 v2, 0xffff, v2
	v_and_or_b32 v4, 0x8000, v7, v4
	v_lshl_or_b32 v2, v4, 16, v2
	v_lshrrev_b32_e32 v4, 16, v3
	global_store_dword v[0:1], v2, off
	global_load_dword v2, v[20:21], off offset:528
	s_waitcnt vmcnt(0)
	v_mul_f16_sdwa v5, v4, v2 dst_sel:DWORD dst_unused:UNUSED_PAD src0_sel:DWORD src1_sel:WORD_1
	v_mul_f16_sdwa v6, v3, v2 dst_sel:DWORD dst_unused:UNUSED_PAD src0_sel:DWORD src1_sel:WORD_1
	v_fmac_f16_e32 v5, v3, v2
	v_fma_f16 v2, v2, v4, -v6
	v_cvt_f32_f16_e32 v3, v5
	v_cvt_f32_f16_e32 v4, v2
	v_cvt_f64_f32_e32 v[2:3], v3
	v_cvt_f64_f32_e32 v[4:5], v4
	v_mul_f64 v[2:3], v[2:3], s[4:5]
	v_mul_f64 v[4:5], v[4:5], s[4:5]
	v_and_or_b32 v2, 0x1ff, v3, v2
	v_and_or_b32 v4, 0x1ff, v5, v4
	v_lshrrev_b32_e32 v6, 8, v3
	v_bfe_u32 v7, v3, 20, 11
	v_lshrrev_b32_e32 v8, 8, v5
	v_cmp_ne_u32_e32 vcc_lo, 0, v2
	v_bfe_u32 v9, v5, 20, 11
	v_lshrrev_b32_e32 v3, 16, v3
	v_sub_nc_u32_e32 v10, 0x3f1, v7
	v_add_nc_u32_e32 v7, 0xfffffc10, v7
	v_cndmask_b32_e64 v2, 0, 1, vcc_lo
	v_cmp_ne_u32_e32 vcc_lo, 0, v4
	v_lshrrev_b32_e32 v5, 16, v5
	v_and_or_b32 v2, 0xffe, v6, v2
	v_cndmask_b32_e64 v4, 0, 1, vcc_lo
	v_sub_nc_u32_e32 v6, 0x3f1, v9
	v_add_nc_u32_e32 v9, 0xfffffc10, v9
	v_and_or_b32 v4, 0xffe, v8, v4
	v_med3_i32 v8, v10, 0, 13
	v_or_b32_e32 v10, 0x1000, v2
	v_med3_i32 v6, v6, 0, 13
	v_or_b32_e32 v11, 0x1000, v4
	v_lshrrev_b32_e32 v12, v8, v10
	v_lshrrev_b32_e32 v13, v6, v11
	v_lshlrev_b32_e32 v8, v8, v12
	v_lshlrev_b32_e32 v6, v6, v13
	v_cmp_ne_u32_e32 vcc_lo, v8, v10
	v_lshl_or_b32 v10, v7, 12, v2
	v_cndmask_b32_e64 v8, 0, 1, vcc_lo
	v_cmp_ne_u32_e32 vcc_lo, v6, v11
	v_lshl_or_b32 v11, v9, 12, v4
	v_or_b32_e32 v8, v12, v8
	v_cndmask_b32_e64 v6, 0, 1, vcc_lo
	v_cmp_gt_i32_e32 vcc_lo, 1, v7
	v_or_b32_e32 v6, v13, v6
	v_cndmask_b32_e32 v8, v10, v8, vcc_lo
	v_cmp_gt_i32_e32 vcc_lo, 1, v9
	v_and_b32_e32 v10, 7, v8
	v_cndmask_b32_e32 v6, v11, v6, vcc_lo
	v_cmp_ne_u32_e32 vcc_lo, 0, v2
	v_lshrrev_b32_e32 v8, 2, v8
	v_cmp_eq_u32_e64 s0, 3, v10
	v_and_b32_e32 v11, 7, v6
	v_cndmask_b32_e64 v2, 0, 1, vcc_lo
	v_cmp_ne_u32_e32 vcc_lo, 0, v4
	v_lshrrev_b32_e32 v6, 2, v6
	v_cmp_lt_i32_e64 s1, 5, v11
	v_cmp_eq_u32_e64 s2, 3, v11
	v_cndmask_b32_e64 v4, 0, 1, vcc_lo
	v_cmp_lt_i32_e32 vcc_lo, 5, v10
	v_lshl_or_b32 v2, v2, 9, 0x7c00
	v_lshl_or_b32 v4, v4, 9, 0x7c00
	s_or_b32 vcc_lo, s0, vcc_lo
	v_add_co_ci_u32_e32 v8, vcc_lo, 0, v8, vcc_lo
	s_or_b32 vcc_lo, s2, s1
	v_add_co_ci_u32_e32 v6, vcc_lo, 0, v6, vcc_lo
	v_cmp_gt_i32_e32 vcc_lo, 31, v7
	v_cndmask_b32_e32 v8, 0x7c00, v8, vcc_lo
	v_cmp_gt_i32_e32 vcc_lo, 31, v9
	v_cndmask_b32_e32 v6, 0x7c00, v6, vcc_lo
	v_cmp_eq_u32_e32 vcc_lo, 0x40f, v7
	v_cndmask_b32_e32 v2, v8, v2, vcc_lo
	v_cmp_eq_u32_e32 vcc_lo, 0x40f, v9
	v_and_or_b32 v2, 0x8000, v3, v2
	v_cndmask_b32_e32 v4, v6, v4, vcc_lo
	v_add_co_u32 v0, vcc_lo, v0, s6
	v_add_co_ci_u32_e32 v1, vcc_lo, s7, v1, vcc_lo
	v_and_or_b32 v3, 0x8000, v5, v4
	v_and_b32_e32 v2, 0xffff, v2
	v_lshl_or_b32 v2, v3, 16, v2
	global_store_dword v[0:1], v2, off
	global_load_dword v4, v[20:21], off offset:852
	v_add_nc_u32_e32 v2, 0x200, v93
	ds_read2_b32 v[2:3], v2 offset0:85 offset1:166
	s_waitcnt lgkmcnt(0)
	v_lshrrev_b32_e32 v5, 16, v2
	s_waitcnt vmcnt(0)
	v_mul_f16_sdwa v6, v5, v4 dst_sel:DWORD dst_unused:UNUSED_PAD src0_sel:DWORD src1_sel:WORD_1
	v_mul_f16_sdwa v7, v2, v4 dst_sel:DWORD dst_unused:UNUSED_PAD src0_sel:DWORD src1_sel:WORD_1
	v_fmac_f16_e32 v6, v2, v4
	v_fma_f16 v2, v4, v5, -v7
	v_cvt_f32_f16_e32 v4, v6
	v_cvt_f32_f16_e32 v2, v2
	v_cvt_f64_f32_e32 v[4:5], v4
	v_cvt_f64_f32_e32 v[6:7], v2
	v_mul_f64 v[4:5], v[4:5], s[4:5]
	v_mul_f64 v[6:7], v[6:7], s[4:5]
	v_and_or_b32 v2, 0x1ff, v5, v4
	v_and_or_b32 v6, 0x1ff, v7, v6
	v_lshrrev_b32_e32 v4, 8, v5
	v_bfe_u32 v8, v5, 20, 11
	v_lshrrev_b32_e32 v9, 8, v7
	v_cmp_ne_u32_e32 vcc_lo, 0, v2
	v_bfe_u32 v10, v7, 20, 11
	v_lshrrev_b32_e32 v5, 16, v5
	v_sub_nc_u32_e32 v11, 0x3f1, v8
	v_add_nc_u32_e32 v8, 0xfffffc10, v8
	v_cndmask_b32_e64 v2, 0, 1, vcc_lo
	v_cmp_ne_u32_e32 vcc_lo, 0, v6
	v_lshrrev_b32_e32 v7, 16, v7
	v_and_or_b32 v2, 0xffe, v4, v2
	v_cndmask_b32_e64 v6, 0, 1, vcc_lo
	v_sub_nc_u32_e32 v4, 0x3f1, v10
	v_add_nc_u32_e32 v10, 0xfffffc10, v10
	v_and_or_b32 v6, 0xffe, v9, v6
	v_med3_i32 v9, v11, 0, 13
	v_or_b32_e32 v11, 0x1000, v2
	v_med3_i32 v4, v4, 0, 13
	v_or_b32_e32 v12, 0x1000, v6
	v_lshrrev_b32_e32 v13, v9, v11
	v_lshrrev_b32_e32 v14, v4, v12
	v_lshlrev_b32_e32 v9, v9, v13
	v_lshlrev_b32_e32 v4, v4, v14
	v_cmp_ne_u32_e32 vcc_lo, v9, v11
	v_lshl_or_b32 v11, v8, 12, v2
	v_cndmask_b32_e64 v9, 0, 1, vcc_lo
	v_cmp_ne_u32_e32 vcc_lo, v4, v12
	v_lshl_or_b32 v12, v10, 12, v6
	v_or_b32_e32 v9, v13, v9
	v_cndmask_b32_e64 v4, 0, 1, vcc_lo
	v_cmp_gt_i32_e32 vcc_lo, 1, v8
	v_or_b32_e32 v4, v14, v4
	v_cndmask_b32_e32 v9, v11, v9, vcc_lo
	v_cmp_gt_i32_e32 vcc_lo, 1, v10
	v_and_b32_e32 v11, 7, v9
	v_cndmask_b32_e32 v4, v12, v4, vcc_lo
	v_cmp_ne_u32_e32 vcc_lo, 0, v2
	v_lshrrev_b32_e32 v9, 2, v9
	v_cmp_eq_u32_e64 s0, 3, v11
	v_and_b32_e32 v12, 7, v4
	v_cndmask_b32_e64 v2, 0, 1, vcc_lo
	v_cmp_ne_u32_e32 vcc_lo, 0, v6
	v_lshrrev_b32_e32 v4, 2, v4
	v_cmp_lt_i32_e64 s1, 5, v12
	v_cmp_eq_u32_e64 s2, 3, v12
	v_cndmask_b32_e64 v6, 0, 1, vcc_lo
	v_cmp_lt_i32_e32 vcc_lo, 5, v11
	v_lshl_or_b32 v2, v2, 9, 0x7c00
	v_lshl_or_b32 v6, v6, 9, 0x7c00
	s_or_b32 vcc_lo, s0, vcc_lo
	v_add_co_ci_u32_e32 v9, vcc_lo, 0, v9, vcc_lo
	s_or_b32 vcc_lo, s2, s1
	v_add_co_ci_u32_e32 v4, vcc_lo, 0, v4, vcc_lo
	v_cmp_gt_i32_e32 vcc_lo, 31, v8
	v_cndmask_b32_e32 v9, 0x7c00, v9, vcc_lo
	v_cmp_gt_i32_e32 vcc_lo, 31, v10
	v_cndmask_b32_e32 v4, 0x7c00, v4, vcc_lo
	v_cmp_eq_u32_e32 vcc_lo, 0x40f, v8
	v_cndmask_b32_e32 v2, v9, v2, vcc_lo
	v_cmp_eq_u32_e32 vcc_lo, 0x40f, v10
	v_and_or_b32 v2, 0x8000, v5, v2
	v_cndmask_b32_e32 v4, v4, v6, vcc_lo
	v_add_co_u32 v0, vcc_lo, v0, s6
	v_add_co_ci_u32_e32 v1, vcc_lo, s7, v1, vcc_lo
	v_and_or_b32 v4, 0x8000, v7, v4
	v_and_b32_e32 v2, 0xffff, v2
	v_lshl_or_b32 v2, v4, 16, v2
	v_lshrrev_b32_e32 v4, 16, v3
	global_store_dword v[0:1], v2, off
	global_load_dword v2, v[20:21], off offset:1176
	s_waitcnt vmcnt(0)
	v_mul_f16_sdwa v5, v4, v2 dst_sel:DWORD dst_unused:UNUSED_PAD src0_sel:DWORD src1_sel:WORD_1
	v_mul_f16_sdwa v6, v3, v2 dst_sel:DWORD dst_unused:UNUSED_PAD src0_sel:DWORD src1_sel:WORD_1
	v_fmac_f16_e32 v5, v3, v2
	v_fma_f16 v2, v2, v4, -v6
	v_cvt_f32_f16_e32 v3, v5
	v_cvt_f32_f16_e32 v4, v2
	v_cvt_f64_f32_e32 v[2:3], v3
	v_cvt_f64_f32_e32 v[4:5], v4
	v_mul_f64 v[2:3], v[2:3], s[4:5]
	v_mul_f64 v[4:5], v[4:5], s[4:5]
	v_and_or_b32 v2, 0x1ff, v3, v2
	v_and_or_b32 v4, 0x1ff, v5, v4
	v_lshrrev_b32_e32 v6, 8, v3
	v_bfe_u32 v7, v3, 20, 11
	v_lshrrev_b32_e32 v8, 8, v5
	v_cmp_ne_u32_e32 vcc_lo, 0, v2
	v_bfe_u32 v9, v5, 20, 11
	v_lshrrev_b32_e32 v3, 16, v3
	v_sub_nc_u32_e32 v10, 0x3f1, v7
	v_add_nc_u32_e32 v7, 0xfffffc10, v7
	v_cndmask_b32_e64 v2, 0, 1, vcc_lo
	v_cmp_ne_u32_e32 vcc_lo, 0, v4
	v_lshrrev_b32_e32 v5, 16, v5
	v_and_or_b32 v2, 0xffe, v6, v2
	v_cndmask_b32_e64 v4, 0, 1, vcc_lo
	v_sub_nc_u32_e32 v6, 0x3f1, v9
	v_add_nc_u32_e32 v9, 0xfffffc10, v9
	v_and_or_b32 v4, 0xffe, v8, v4
	v_med3_i32 v8, v10, 0, 13
	v_or_b32_e32 v10, 0x1000, v2
	v_med3_i32 v6, v6, 0, 13
	v_or_b32_e32 v11, 0x1000, v4
	v_lshrrev_b32_e32 v12, v8, v10
	v_lshrrev_b32_e32 v13, v6, v11
	v_lshlrev_b32_e32 v8, v8, v12
	v_lshlrev_b32_e32 v6, v6, v13
	v_cmp_ne_u32_e32 vcc_lo, v8, v10
	v_lshl_or_b32 v10, v7, 12, v2
	v_cndmask_b32_e64 v8, 0, 1, vcc_lo
	v_cmp_ne_u32_e32 vcc_lo, v6, v11
	v_lshl_or_b32 v11, v9, 12, v4
	v_or_b32_e32 v8, v12, v8
	v_cndmask_b32_e64 v6, 0, 1, vcc_lo
	v_cmp_gt_i32_e32 vcc_lo, 1, v7
	v_or_b32_e32 v6, v13, v6
	v_cndmask_b32_e32 v8, v10, v8, vcc_lo
	v_cmp_gt_i32_e32 vcc_lo, 1, v9
	v_and_b32_e32 v10, 7, v8
	v_cndmask_b32_e32 v6, v11, v6, vcc_lo
	v_cmp_ne_u32_e32 vcc_lo, 0, v2
	v_lshrrev_b32_e32 v8, 2, v8
	v_cmp_eq_u32_e64 s0, 3, v10
	v_and_b32_e32 v11, 7, v6
	v_cndmask_b32_e64 v2, 0, 1, vcc_lo
	v_cmp_ne_u32_e32 vcc_lo, 0, v4
	v_lshrrev_b32_e32 v6, 2, v6
	v_cmp_lt_i32_e64 s1, 5, v11
	v_cmp_eq_u32_e64 s2, 3, v11
	v_cndmask_b32_e64 v4, 0, 1, vcc_lo
	v_cmp_lt_i32_e32 vcc_lo, 5, v10
	v_lshl_or_b32 v2, v2, 9, 0x7c00
	v_lshl_or_b32 v4, v4, 9, 0x7c00
	s_or_b32 vcc_lo, s0, vcc_lo
	v_add_co_ci_u32_e32 v8, vcc_lo, 0, v8, vcc_lo
	s_or_b32 vcc_lo, s2, s1
	v_add_co_ci_u32_e32 v6, vcc_lo, 0, v6, vcc_lo
	v_cmp_gt_i32_e32 vcc_lo, 31, v7
	v_cndmask_b32_e32 v8, 0x7c00, v8, vcc_lo
	v_cmp_gt_i32_e32 vcc_lo, 31, v9
	v_cndmask_b32_e32 v6, 0x7c00, v6, vcc_lo
	v_cmp_eq_u32_e32 vcc_lo, 0x40f, v7
	v_cndmask_b32_e32 v2, v8, v2, vcc_lo
	v_cmp_eq_u32_e32 vcc_lo, 0x40f, v9
	v_and_or_b32 v2, 0x8000, v3, v2
	v_cndmask_b32_e32 v4, v6, v4, vcc_lo
	v_add_co_u32 v0, vcc_lo, v0, s6
	v_add_co_ci_u32_e32 v1, vcc_lo, s7, v1, vcc_lo
	v_and_or_b32 v3, 0x8000, v5, v4
	v_and_b32_e32 v2, 0xffff, v2
	v_lshl_or_b32 v2, v3, 16, v2
	global_store_dword v[0:1], v2, off
	global_load_dword v4, v[20:21], off offset:1500
	ds_read2_b32 v[2:3], v67 offset0:119 offset1:200
	s_waitcnt lgkmcnt(0)
	v_lshrrev_b32_e32 v5, 16, v2
	s_waitcnt vmcnt(0)
	v_mul_f16_sdwa v6, v5, v4 dst_sel:DWORD dst_unused:UNUSED_PAD src0_sel:DWORD src1_sel:WORD_1
	v_mul_f16_sdwa v7, v2, v4 dst_sel:DWORD dst_unused:UNUSED_PAD src0_sel:DWORD src1_sel:WORD_1
	v_fmac_f16_e32 v6, v2, v4
	v_fma_f16 v2, v4, v5, -v7
	v_cvt_f32_f16_e32 v4, v6
	v_cvt_f32_f16_e32 v2, v2
	v_cvt_f64_f32_e32 v[4:5], v4
	v_cvt_f64_f32_e32 v[6:7], v2
	v_mul_f64 v[4:5], v[4:5], s[4:5]
	v_mul_f64 v[6:7], v[6:7], s[4:5]
	v_and_or_b32 v2, 0x1ff, v5, v4
	v_and_or_b32 v6, 0x1ff, v7, v6
	v_lshrrev_b32_e32 v4, 8, v5
	v_bfe_u32 v8, v5, 20, 11
	v_lshrrev_b32_e32 v9, 8, v7
	v_cmp_ne_u32_e32 vcc_lo, 0, v2
	v_bfe_u32 v10, v7, 20, 11
	v_lshrrev_b32_e32 v5, 16, v5
	v_sub_nc_u32_e32 v11, 0x3f1, v8
	v_add_nc_u32_e32 v8, 0xfffffc10, v8
	v_cndmask_b32_e64 v2, 0, 1, vcc_lo
	v_cmp_ne_u32_e32 vcc_lo, 0, v6
	v_lshrrev_b32_e32 v7, 16, v7
	v_and_or_b32 v2, 0xffe, v4, v2
	v_cndmask_b32_e64 v6, 0, 1, vcc_lo
	v_sub_nc_u32_e32 v4, 0x3f1, v10
	v_add_nc_u32_e32 v10, 0xfffffc10, v10
	v_and_or_b32 v6, 0xffe, v9, v6
	v_med3_i32 v9, v11, 0, 13
	v_or_b32_e32 v11, 0x1000, v2
	v_med3_i32 v4, v4, 0, 13
	v_or_b32_e32 v12, 0x1000, v6
	v_lshrrev_b32_e32 v13, v9, v11
	v_lshrrev_b32_e32 v14, v4, v12
	v_lshlrev_b32_e32 v9, v9, v13
	v_lshlrev_b32_e32 v4, v4, v14
	v_cmp_ne_u32_e32 vcc_lo, v9, v11
	v_lshl_or_b32 v11, v8, 12, v2
	v_cndmask_b32_e64 v9, 0, 1, vcc_lo
	v_cmp_ne_u32_e32 vcc_lo, v4, v12
	v_lshl_or_b32 v12, v10, 12, v6
	v_or_b32_e32 v9, v13, v9
	v_cndmask_b32_e64 v4, 0, 1, vcc_lo
	v_cmp_gt_i32_e32 vcc_lo, 1, v8
	v_or_b32_e32 v4, v14, v4
	v_cndmask_b32_e32 v9, v11, v9, vcc_lo
	v_cmp_gt_i32_e32 vcc_lo, 1, v10
	v_and_b32_e32 v11, 7, v9
	v_cndmask_b32_e32 v4, v12, v4, vcc_lo
	v_cmp_ne_u32_e32 vcc_lo, 0, v2
	v_lshrrev_b32_e32 v9, 2, v9
	v_cmp_eq_u32_e64 s0, 3, v11
	v_and_b32_e32 v12, 7, v4
	v_cndmask_b32_e64 v2, 0, 1, vcc_lo
	v_cmp_ne_u32_e32 vcc_lo, 0, v6
	v_lshrrev_b32_e32 v4, 2, v4
	v_cmp_lt_i32_e64 s1, 5, v12
	v_cmp_eq_u32_e64 s2, 3, v12
	v_cndmask_b32_e64 v6, 0, 1, vcc_lo
	v_cmp_lt_i32_e32 vcc_lo, 5, v11
	v_lshl_or_b32 v2, v2, 9, 0x7c00
	v_lshl_or_b32 v6, v6, 9, 0x7c00
	s_or_b32 vcc_lo, s0, vcc_lo
	v_add_co_ci_u32_e32 v9, vcc_lo, 0, v9, vcc_lo
	s_or_b32 vcc_lo, s2, s1
	v_add_co_ci_u32_e32 v4, vcc_lo, 0, v4, vcc_lo
	v_cmp_gt_i32_e32 vcc_lo, 31, v8
	v_cndmask_b32_e32 v9, 0x7c00, v9, vcc_lo
	v_cmp_gt_i32_e32 vcc_lo, 31, v10
	v_cndmask_b32_e32 v4, 0x7c00, v4, vcc_lo
	v_cmp_eq_u32_e32 vcc_lo, 0x40f, v8
	v_cndmask_b32_e32 v2, v9, v2, vcc_lo
	v_cmp_eq_u32_e32 vcc_lo, 0x40f, v10
	v_and_or_b32 v2, 0x8000, v5, v2
	v_cndmask_b32_e32 v4, v4, v6, vcc_lo
	v_add_co_u32 v0, vcc_lo, v0, s6
	v_add_co_ci_u32_e32 v1, vcc_lo, s7, v1, vcc_lo
	v_and_or_b32 v4, 0x8000, v7, v4
	v_and_b32_e32 v2, 0xffff, v2
	v_lshl_or_b32 v2, v4, 16, v2
	v_lshrrev_b32_e32 v4, 16, v3
	global_store_dword v[0:1], v2, off
	global_load_dword v2, v[20:21], off offset:1824
	s_waitcnt vmcnt(0)
	v_mul_f16_sdwa v5, v4, v2 dst_sel:DWORD dst_unused:UNUSED_PAD src0_sel:DWORD src1_sel:WORD_1
	v_mul_f16_sdwa v6, v3, v2 dst_sel:DWORD dst_unused:UNUSED_PAD src0_sel:DWORD src1_sel:WORD_1
	v_fmac_f16_e32 v5, v3, v2
	v_fma_f16 v2, v2, v4, -v6
	v_cvt_f32_f16_e32 v3, v5
	v_cvt_f32_f16_e32 v4, v2
	v_cvt_f64_f32_e32 v[2:3], v3
	v_cvt_f64_f32_e32 v[4:5], v4
	v_mul_f64 v[2:3], v[2:3], s[4:5]
	v_mul_f64 v[4:5], v[4:5], s[4:5]
	v_and_or_b32 v2, 0x1ff, v3, v2
	v_and_or_b32 v4, 0x1ff, v5, v4
	v_lshrrev_b32_e32 v6, 8, v3
	v_bfe_u32 v7, v3, 20, 11
	v_lshrrev_b32_e32 v8, 8, v5
	v_cmp_ne_u32_e32 vcc_lo, 0, v2
	v_bfe_u32 v9, v5, 20, 11
	v_lshrrev_b32_e32 v3, 16, v3
	v_sub_nc_u32_e32 v10, 0x3f1, v7
	v_add_nc_u32_e32 v7, 0xfffffc10, v7
	v_cndmask_b32_e64 v2, 0, 1, vcc_lo
	v_cmp_ne_u32_e32 vcc_lo, 0, v4
	v_lshrrev_b32_e32 v5, 16, v5
	v_and_or_b32 v2, 0xffe, v6, v2
	v_cndmask_b32_e64 v4, 0, 1, vcc_lo
	v_sub_nc_u32_e32 v6, 0x3f1, v9
	v_add_nc_u32_e32 v9, 0xfffffc10, v9
	v_and_or_b32 v4, 0xffe, v8, v4
	v_med3_i32 v8, v10, 0, 13
	v_or_b32_e32 v10, 0x1000, v2
	v_med3_i32 v6, v6, 0, 13
	v_or_b32_e32 v11, 0x1000, v4
	v_lshrrev_b32_e32 v12, v8, v10
	v_lshrrev_b32_e32 v13, v6, v11
	v_lshlrev_b32_e32 v8, v8, v12
	v_lshlrev_b32_e32 v6, v6, v13
	v_cmp_ne_u32_e32 vcc_lo, v8, v10
	v_lshl_or_b32 v10, v7, 12, v2
	v_cndmask_b32_e64 v8, 0, 1, vcc_lo
	v_cmp_ne_u32_e32 vcc_lo, v6, v11
	v_lshl_or_b32 v11, v9, 12, v4
	v_or_b32_e32 v8, v12, v8
	v_cndmask_b32_e64 v6, 0, 1, vcc_lo
	v_cmp_gt_i32_e32 vcc_lo, 1, v7
	v_or_b32_e32 v6, v13, v6
	v_cndmask_b32_e32 v8, v10, v8, vcc_lo
	v_cmp_gt_i32_e32 vcc_lo, 1, v9
	v_and_b32_e32 v10, 7, v8
	v_cndmask_b32_e32 v6, v11, v6, vcc_lo
	v_cmp_ne_u32_e32 vcc_lo, 0, v2
	v_lshrrev_b32_e32 v8, 2, v8
	v_cmp_eq_u32_e64 s0, 3, v10
	v_and_b32_e32 v11, 7, v6
	v_cndmask_b32_e64 v2, 0, 1, vcc_lo
	v_cmp_ne_u32_e32 vcc_lo, 0, v4
	v_lshrrev_b32_e32 v6, 2, v6
	v_cmp_lt_i32_e64 s1, 5, v11
	v_cmp_eq_u32_e64 s2, 3, v11
	v_cndmask_b32_e64 v4, 0, 1, vcc_lo
	v_cmp_lt_i32_e32 vcc_lo, 5, v10
	v_lshl_or_b32 v2, v2, 9, 0x7c00
	v_lshl_or_b32 v4, v4, 9, 0x7c00
	s_or_b32 vcc_lo, s0, vcc_lo
	v_add_co_ci_u32_e32 v8, vcc_lo, 0, v8, vcc_lo
	s_or_b32 vcc_lo, s2, s1
	v_add_co_ci_u32_e32 v6, vcc_lo, 0, v6, vcc_lo
	v_cmp_gt_i32_e32 vcc_lo, 31, v7
	v_cndmask_b32_e32 v8, 0x7c00, v8, vcc_lo
	v_cmp_gt_i32_e32 vcc_lo, 31, v9
	v_cndmask_b32_e32 v6, 0x7c00, v6, vcc_lo
	v_cmp_eq_u32_e32 vcc_lo, 0x40f, v7
	v_cndmask_b32_e32 v2, v8, v2, vcc_lo
	v_cmp_eq_u32_e32 vcc_lo, 0x40f, v9
	v_and_or_b32 v2, 0x8000, v3, v2
	v_cndmask_b32_e32 v4, v6, v4, vcc_lo
	v_add_co_u32 v0, vcc_lo, v0, s6
	v_add_co_ci_u32_e32 v1, vcc_lo, s7, v1, vcc_lo
	v_and_or_b32 v3, 0x8000, v5, v4
	v_and_b32_e32 v2, 0xffff, v2
	v_lshl_or_b32 v2, v3, 16, v2
	global_store_dword v[0:1], v2, off
	global_load_dword v4, v[18:19], off offset:100
	ds_read2_b32 v[2:3], v66 offset0:25 offset1:106
	s_waitcnt lgkmcnt(0)
	v_lshrrev_b32_e32 v5, 16, v2
	s_waitcnt vmcnt(0)
	v_mul_f16_sdwa v6, v5, v4 dst_sel:DWORD dst_unused:UNUSED_PAD src0_sel:DWORD src1_sel:WORD_1
	v_mul_f16_sdwa v7, v2, v4 dst_sel:DWORD dst_unused:UNUSED_PAD src0_sel:DWORD src1_sel:WORD_1
	v_fmac_f16_e32 v6, v2, v4
	v_fma_f16 v2, v4, v5, -v7
	v_cvt_f32_f16_e32 v4, v6
	v_cvt_f32_f16_e32 v2, v2
	v_cvt_f64_f32_e32 v[4:5], v4
	v_cvt_f64_f32_e32 v[6:7], v2
	v_mul_f64 v[4:5], v[4:5], s[4:5]
	v_mul_f64 v[6:7], v[6:7], s[4:5]
	v_and_or_b32 v2, 0x1ff, v5, v4
	v_and_or_b32 v6, 0x1ff, v7, v6
	v_lshrrev_b32_e32 v4, 8, v5
	v_bfe_u32 v8, v5, 20, 11
	v_lshrrev_b32_e32 v9, 8, v7
	v_cmp_ne_u32_e32 vcc_lo, 0, v2
	v_bfe_u32 v10, v7, 20, 11
	v_lshrrev_b32_e32 v5, 16, v5
	v_sub_nc_u32_e32 v11, 0x3f1, v8
	v_add_nc_u32_e32 v8, 0xfffffc10, v8
	v_cndmask_b32_e64 v2, 0, 1, vcc_lo
	v_cmp_ne_u32_e32 vcc_lo, 0, v6
	v_lshrrev_b32_e32 v7, 16, v7
	v_and_or_b32 v2, 0xffe, v4, v2
	v_cndmask_b32_e64 v6, 0, 1, vcc_lo
	v_sub_nc_u32_e32 v4, 0x3f1, v10
	v_add_nc_u32_e32 v10, 0xfffffc10, v10
	v_and_or_b32 v6, 0xffe, v9, v6
	v_med3_i32 v9, v11, 0, 13
	v_or_b32_e32 v11, 0x1000, v2
	v_med3_i32 v4, v4, 0, 13
	v_or_b32_e32 v12, 0x1000, v6
	v_lshrrev_b32_e32 v13, v9, v11
	v_lshrrev_b32_e32 v14, v4, v12
	v_lshlrev_b32_e32 v9, v9, v13
	v_lshlrev_b32_e32 v4, v4, v14
	v_cmp_ne_u32_e32 vcc_lo, v9, v11
	v_lshl_or_b32 v11, v8, 12, v2
	v_cndmask_b32_e64 v9, 0, 1, vcc_lo
	v_cmp_ne_u32_e32 vcc_lo, v4, v12
	v_lshl_or_b32 v12, v10, 12, v6
	v_or_b32_e32 v9, v13, v9
	v_cndmask_b32_e64 v4, 0, 1, vcc_lo
	v_cmp_gt_i32_e32 vcc_lo, 1, v8
	v_or_b32_e32 v4, v14, v4
	v_cndmask_b32_e32 v9, v11, v9, vcc_lo
	v_cmp_gt_i32_e32 vcc_lo, 1, v10
	v_and_b32_e32 v11, 7, v9
	v_cndmask_b32_e32 v4, v12, v4, vcc_lo
	v_cmp_ne_u32_e32 vcc_lo, 0, v2
	v_lshrrev_b32_e32 v9, 2, v9
	v_cmp_eq_u32_e64 s0, 3, v11
	v_and_b32_e32 v12, 7, v4
	v_cndmask_b32_e64 v2, 0, 1, vcc_lo
	v_cmp_ne_u32_e32 vcc_lo, 0, v6
	v_lshrrev_b32_e32 v4, 2, v4
	v_cmp_lt_i32_e64 s1, 5, v12
	v_cmp_eq_u32_e64 s2, 3, v12
	v_cndmask_b32_e64 v6, 0, 1, vcc_lo
	v_cmp_lt_i32_e32 vcc_lo, 5, v11
	v_lshl_or_b32 v2, v2, 9, 0x7c00
	v_lshl_or_b32 v6, v6, 9, 0x7c00
	s_or_b32 vcc_lo, s0, vcc_lo
	v_add_co_ci_u32_e32 v9, vcc_lo, 0, v9, vcc_lo
	s_or_b32 vcc_lo, s2, s1
	v_add_co_ci_u32_e32 v4, vcc_lo, 0, v4, vcc_lo
	v_cmp_gt_i32_e32 vcc_lo, 31, v8
	v_cndmask_b32_e32 v9, 0x7c00, v9, vcc_lo
	v_cmp_gt_i32_e32 vcc_lo, 31, v10
	v_cndmask_b32_e32 v4, 0x7c00, v4, vcc_lo
	v_cmp_eq_u32_e32 vcc_lo, 0x40f, v8
	v_cndmask_b32_e32 v2, v9, v2, vcc_lo
	v_cmp_eq_u32_e32 vcc_lo, 0x40f, v10
	v_and_or_b32 v2, 0x8000, v5, v2
	v_cndmask_b32_e32 v4, v4, v6, vcc_lo
	v_add_co_u32 v0, vcc_lo, v0, s6
	v_add_co_ci_u32_e32 v1, vcc_lo, s7, v1, vcc_lo
	v_and_or_b32 v4, 0x8000, v7, v4
	v_and_b32_e32 v2, 0xffff, v2
	v_lshl_or_b32 v2, v4, 16, v2
	v_lshrrev_b32_e32 v4, 16, v3
	global_store_dword v[0:1], v2, off
	global_load_dword v2, v[18:19], off offset:424
	s_waitcnt vmcnt(0)
	v_mul_f16_sdwa v5, v4, v2 dst_sel:DWORD dst_unused:UNUSED_PAD src0_sel:DWORD src1_sel:WORD_1
	v_mul_f16_sdwa v6, v3, v2 dst_sel:DWORD dst_unused:UNUSED_PAD src0_sel:DWORD src1_sel:WORD_1
	v_fmac_f16_e32 v5, v3, v2
	v_fma_f16 v2, v2, v4, -v6
	v_cvt_f32_f16_e32 v3, v5
	v_cvt_f32_f16_e32 v4, v2
	v_cvt_f64_f32_e32 v[2:3], v3
	v_cvt_f64_f32_e32 v[4:5], v4
	v_mul_f64 v[2:3], v[2:3], s[4:5]
	v_mul_f64 v[4:5], v[4:5], s[4:5]
	v_and_or_b32 v2, 0x1ff, v3, v2
	v_and_or_b32 v4, 0x1ff, v5, v4
	v_lshrrev_b32_e32 v6, 8, v3
	v_bfe_u32 v7, v3, 20, 11
	v_lshrrev_b32_e32 v8, 8, v5
	v_cmp_ne_u32_e32 vcc_lo, 0, v2
	v_bfe_u32 v9, v5, 20, 11
	v_lshrrev_b32_e32 v3, 16, v3
	v_sub_nc_u32_e32 v10, 0x3f1, v7
	v_add_nc_u32_e32 v7, 0xfffffc10, v7
	v_cndmask_b32_e64 v2, 0, 1, vcc_lo
	v_cmp_ne_u32_e32 vcc_lo, 0, v4
	v_lshrrev_b32_e32 v5, 16, v5
	v_and_or_b32 v2, 0xffe, v6, v2
	v_cndmask_b32_e64 v4, 0, 1, vcc_lo
	v_sub_nc_u32_e32 v6, 0x3f1, v9
	v_add_nc_u32_e32 v9, 0xfffffc10, v9
	v_and_or_b32 v4, 0xffe, v8, v4
	v_med3_i32 v8, v10, 0, 13
	v_or_b32_e32 v10, 0x1000, v2
	v_med3_i32 v6, v6, 0, 13
	v_or_b32_e32 v11, 0x1000, v4
	v_lshrrev_b32_e32 v12, v8, v10
	v_lshrrev_b32_e32 v13, v6, v11
	v_lshlrev_b32_e32 v8, v8, v12
	v_lshlrev_b32_e32 v6, v6, v13
	v_cmp_ne_u32_e32 vcc_lo, v8, v10
	v_lshl_or_b32 v10, v7, 12, v2
	v_cndmask_b32_e64 v8, 0, 1, vcc_lo
	v_cmp_ne_u32_e32 vcc_lo, v6, v11
	v_lshl_or_b32 v11, v9, 12, v4
	v_or_b32_e32 v8, v12, v8
	v_cndmask_b32_e64 v6, 0, 1, vcc_lo
	v_cmp_gt_i32_e32 vcc_lo, 1, v7
	v_or_b32_e32 v6, v13, v6
	v_cndmask_b32_e32 v8, v10, v8, vcc_lo
	v_cmp_gt_i32_e32 vcc_lo, 1, v9
	v_and_b32_e32 v10, 7, v8
	v_cndmask_b32_e32 v6, v11, v6, vcc_lo
	v_cmp_ne_u32_e32 vcc_lo, 0, v2
	v_lshrrev_b32_e32 v8, 2, v8
	v_cmp_eq_u32_e64 s0, 3, v10
	v_and_b32_e32 v11, 7, v6
	v_cndmask_b32_e64 v2, 0, 1, vcc_lo
	v_cmp_ne_u32_e32 vcc_lo, 0, v4
	v_lshrrev_b32_e32 v6, 2, v6
	v_cmp_lt_i32_e64 s1, 5, v11
	v_cmp_eq_u32_e64 s2, 3, v11
	v_cndmask_b32_e64 v4, 0, 1, vcc_lo
	v_cmp_lt_i32_e32 vcc_lo, 5, v10
	v_lshl_or_b32 v2, v2, 9, 0x7c00
	v_lshl_or_b32 v4, v4, 9, 0x7c00
	s_or_b32 vcc_lo, s0, vcc_lo
	v_add_co_ci_u32_e32 v8, vcc_lo, 0, v8, vcc_lo
	s_or_b32 vcc_lo, s2, s1
	v_add_co_ci_u32_e32 v6, vcc_lo, 0, v6, vcc_lo
	v_cmp_gt_i32_e32 vcc_lo, 31, v7
	v_cndmask_b32_e32 v8, 0x7c00, v8, vcc_lo
	v_cmp_gt_i32_e32 vcc_lo, 31, v9
	v_cndmask_b32_e32 v6, 0x7c00, v6, vcc_lo
	v_cmp_eq_u32_e32 vcc_lo, 0x40f, v7
	v_cndmask_b32_e32 v2, v8, v2, vcc_lo
	v_cmp_eq_u32_e32 vcc_lo, 0x40f, v9
	v_and_or_b32 v2, 0x8000, v3, v2
	v_cndmask_b32_e32 v4, v6, v4, vcc_lo
	v_add_co_u32 v0, vcc_lo, v0, s6
	v_add_co_ci_u32_e32 v1, vcc_lo, s7, v1, vcc_lo
	v_and_or_b32 v3, 0x8000, v5, v4
	v_and_b32_e32 v2, 0xffff, v2
	v_lshl_or_b32 v2, v3, 16, v2
	global_store_dword v[0:1], v2, off
	global_load_dword v4, v[18:19], off offset:748
	v_add_nc_u32_e32 v2, 0xa00, v93
	ds_read2_b32 v[2:3], v2 offset0:59 offset1:140
	s_waitcnt lgkmcnt(0)
	v_lshrrev_b32_e32 v5, 16, v2
	s_waitcnt vmcnt(0)
	v_mul_f16_sdwa v6, v5, v4 dst_sel:DWORD dst_unused:UNUSED_PAD src0_sel:DWORD src1_sel:WORD_1
	v_mul_f16_sdwa v7, v2, v4 dst_sel:DWORD dst_unused:UNUSED_PAD src0_sel:DWORD src1_sel:WORD_1
	v_fmac_f16_e32 v6, v2, v4
	v_fma_f16 v2, v4, v5, -v7
	v_cvt_f32_f16_e32 v4, v6
	v_cvt_f32_f16_e32 v2, v2
	v_cvt_f64_f32_e32 v[4:5], v4
	v_cvt_f64_f32_e32 v[6:7], v2
	v_mul_f64 v[4:5], v[4:5], s[4:5]
	v_mul_f64 v[6:7], v[6:7], s[4:5]
	v_and_or_b32 v2, 0x1ff, v5, v4
	v_and_or_b32 v6, 0x1ff, v7, v6
	v_lshrrev_b32_e32 v4, 8, v5
	v_bfe_u32 v8, v5, 20, 11
	v_lshrrev_b32_e32 v9, 8, v7
	v_cmp_ne_u32_e32 vcc_lo, 0, v2
	v_bfe_u32 v10, v7, 20, 11
	v_lshrrev_b32_e32 v5, 16, v5
	v_sub_nc_u32_e32 v11, 0x3f1, v8
	v_add_nc_u32_e32 v8, 0xfffffc10, v8
	v_cndmask_b32_e64 v2, 0, 1, vcc_lo
	v_cmp_ne_u32_e32 vcc_lo, 0, v6
	v_lshrrev_b32_e32 v7, 16, v7
	v_and_or_b32 v2, 0xffe, v4, v2
	v_cndmask_b32_e64 v6, 0, 1, vcc_lo
	v_sub_nc_u32_e32 v4, 0x3f1, v10
	v_add_nc_u32_e32 v10, 0xfffffc10, v10
	v_and_or_b32 v6, 0xffe, v9, v6
	v_med3_i32 v9, v11, 0, 13
	v_or_b32_e32 v11, 0x1000, v2
	v_med3_i32 v4, v4, 0, 13
	v_or_b32_e32 v12, 0x1000, v6
	v_lshrrev_b32_e32 v13, v9, v11
	v_lshrrev_b32_e32 v14, v4, v12
	v_lshlrev_b32_e32 v9, v9, v13
	v_lshlrev_b32_e32 v4, v4, v14
	v_cmp_ne_u32_e32 vcc_lo, v9, v11
	v_lshl_or_b32 v11, v8, 12, v2
	v_cndmask_b32_e64 v9, 0, 1, vcc_lo
	v_cmp_ne_u32_e32 vcc_lo, v4, v12
	v_lshl_or_b32 v12, v10, 12, v6
	v_or_b32_e32 v9, v13, v9
	v_cndmask_b32_e64 v4, 0, 1, vcc_lo
	v_cmp_gt_i32_e32 vcc_lo, 1, v8
	v_or_b32_e32 v4, v14, v4
	v_cndmask_b32_e32 v9, v11, v9, vcc_lo
	v_cmp_gt_i32_e32 vcc_lo, 1, v10
	v_and_b32_e32 v11, 7, v9
	v_cndmask_b32_e32 v4, v12, v4, vcc_lo
	v_cmp_ne_u32_e32 vcc_lo, 0, v2
	v_lshrrev_b32_e32 v9, 2, v9
	v_cmp_eq_u32_e64 s0, 3, v11
	v_and_b32_e32 v12, 7, v4
	v_cndmask_b32_e64 v2, 0, 1, vcc_lo
	v_cmp_ne_u32_e32 vcc_lo, 0, v6
	v_lshrrev_b32_e32 v4, 2, v4
	v_cmp_lt_i32_e64 s1, 5, v12
	v_cmp_eq_u32_e64 s2, 3, v12
	v_cndmask_b32_e64 v6, 0, 1, vcc_lo
	v_cmp_lt_i32_e32 vcc_lo, 5, v11
	v_lshl_or_b32 v2, v2, 9, 0x7c00
	v_lshl_or_b32 v6, v6, 9, 0x7c00
	s_or_b32 vcc_lo, s0, vcc_lo
	v_add_co_ci_u32_e32 v9, vcc_lo, 0, v9, vcc_lo
	s_or_b32 vcc_lo, s2, s1
	v_add_co_ci_u32_e32 v4, vcc_lo, 0, v4, vcc_lo
	v_cmp_gt_i32_e32 vcc_lo, 31, v8
	v_cndmask_b32_e32 v9, 0x7c00, v9, vcc_lo
	v_cmp_gt_i32_e32 vcc_lo, 31, v10
	v_cndmask_b32_e32 v4, 0x7c00, v4, vcc_lo
	v_cmp_eq_u32_e32 vcc_lo, 0x40f, v8
	v_cndmask_b32_e32 v2, v9, v2, vcc_lo
	v_cmp_eq_u32_e32 vcc_lo, 0x40f, v10
	v_and_or_b32 v2, 0x8000, v5, v2
	v_cndmask_b32_e32 v4, v4, v6, vcc_lo
	v_add_co_u32 v0, vcc_lo, v0, s6
	v_add_co_ci_u32_e32 v1, vcc_lo, s7, v1, vcc_lo
	v_and_or_b32 v4, 0x8000, v7, v4
	v_and_b32_e32 v2, 0xffff, v2
	v_lshl_or_b32 v2, v4, 16, v2
	v_lshrrev_b32_e32 v4, 16, v3
	global_store_dword v[0:1], v2, off
	global_load_dword v2, v[18:19], off offset:1072
	s_waitcnt vmcnt(0)
	v_mul_f16_sdwa v5, v4, v2 dst_sel:DWORD dst_unused:UNUSED_PAD src0_sel:DWORD src1_sel:WORD_1
	v_mul_f16_sdwa v6, v3, v2 dst_sel:DWORD dst_unused:UNUSED_PAD src0_sel:DWORD src1_sel:WORD_1
	v_fmac_f16_e32 v5, v3, v2
	v_fma_f16 v2, v2, v4, -v6
	v_cvt_f32_f16_e32 v3, v5
	v_cvt_f32_f16_e32 v4, v2
	v_cvt_f64_f32_e32 v[2:3], v3
	v_cvt_f64_f32_e32 v[4:5], v4
	v_mul_f64 v[2:3], v[2:3], s[4:5]
	v_mul_f64 v[4:5], v[4:5], s[4:5]
	v_and_or_b32 v2, 0x1ff, v3, v2
	v_and_or_b32 v4, 0x1ff, v5, v4
	v_lshrrev_b32_e32 v6, 8, v3
	v_bfe_u32 v7, v3, 20, 11
	v_lshrrev_b32_e32 v8, 8, v5
	v_cmp_ne_u32_e32 vcc_lo, 0, v2
	v_bfe_u32 v9, v5, 20, 11
	v_lshrrev_b32_e32 v3, 16, v3
	v_sub_nc_u32_e32 v10, 0x3f1, v7
	v_add_nc_u32_e32 v7, 0xfffffc10, v7
	v_cndmask_b32_e64 v2, 0, 1, vcc_lo
	v_cmp_ne_u32_e32 vcc_lo, 0, v4
	v_lshrrev_b32_e32 v5, 16, v5
	v_and_or_b32 v2, 0xffe, v6, v2
	v_cndmask_b32_e64 v4, 0, 1, vcc_lo
	v_sub_nc_u32_e32 v6, 0x3f1, v9
	v_add_nc_u32_e32 v9, 0xfffffc10, v9
	v_and_or_b32 v4, 0xffe, v8, v4
	v_med3_i32 v8, v10, 0, 13
	v_or_b32_e32 v10, 0x1000, v2
	v_med3_i32 v6, v6, 0, 13
	v_or_b32_e32 v11, 0x1000, v4
	v_lshrrev_b32_e32 v12, v8, v10
	v_lshrrev_b32_e32 v13, v6, v11
	v_lshlrev_b32_e32 v8, v8, v12
	v_lshlrev_b32_e32 v6, v6, v13
	v_cmp_ne_u32_e32 vcc_lo, v8, v10
	v_lshl_or_b32 v10, v7, 12, v2
	v_cndmask_b32_e64 v8, 0, 1, vcc_lo
	v_cmp_ne_u32_e32 vcc_lo, v6, v11
	v_lshl_or_b32 v11, v9, 12, v4
	v_or_b32_e32 v8, v12, v8
	v_cndmask_b32_e64 v6, 0, 1, vcc_lo
	v_cmp_gt_i32_e32 vcc_lo, 1, v7
	v_or_b32_e32 v6, v13, v6
	v_cndmask_b32_e32 v8, v10, v8, vcc_lo
	v_cmp_gt_i32_e32 vcc_lo, 1, v9
	v_and_b32_e32 v10, 7, v8
	v_cndmask_b32_e32 v6, v11, v6, vcc_lo
	v_cmp_ne_u32_e32 vcc_lo, 0, v2
	v_lshrrev_b32_e32 v8, 2, v8
	v_cmp_eq_u32_e64 s0, 3, v10
	v_and_b32_e32 v11, 7, v6
	v_cndmask_b32_e64 v2, 0, 1, vcc_lo
	v_cmp_ne_u32_e32 vcc_lo, 0, v4
	v_lshrrev_b32_e32 v6, 2, v6
	v_cmp_lt_i32_e64 s1, 5, v11
	v_cmp_eq_u32_e64 s2, 3, v11
	v_cndmask_b32_e64 v4, 0, 1, vcc_lo
	v_cmp_lt_i32_e32 vcc_lo, 5, v10
	v_lshl_or_b32 v2, v2, 9, 0x7c00
	v_lshl_or_b32 v4, v4, 9, 0x7c00
	s_or_b32 vcc_lo, s0, vcc_lo
	v_add_co_ci_u32_e32 v8, vcc_lo, 0, v8, vcc_lo
	s_or_b32 vcc_lo, s2, s1
	v_add_co_ci_u32_e32 v6, vcc_lo, 0, v6, vcc_lo
	v_cmp_gt_i32_e32 vcc_lo, 31, v7
	v_cndmask_b32_e32 v8, 0x7c00, v8, vcc_lo
	v_cmp_gt_i32_e32 vcc_lo, 31, v9
	v_cndmask_b32_e32 v6, 0x7c00, v6, vcc_lo
	v_cmp_eq_u32_e32 vcc_lo, 0x40f, v7
	v_cndmask_b32_e32 v2, v8, v2, vcc_lo
	v_cmp_eq_u32_e32 vcc_lo, 0x40f, v9
	v_and_or_b32 v2, 0x8000, v3, v2
	v_cndmask_b32_e32 v4, v6, v4, vcc_lo
	v_add_co_u32 v0, vcc_lo, v0, s6
	v_add_co_ci_u32_e32 v1, vcc_lo, s7, v1, vcc_lo
	v_and_or_b32 v3, 0x8000, v5, v4
	v_and_b32_e32 v2, 0xffff, v2
	v_lshl_or_b32 v2, v3, 16, v2
	global_store_dword v[0:1], v2, off
	global_load_dword v4, v[18:19], off offset:1396
	ds_read2_b32 v[2:3], v65 offset0:93 offset1:174
	s_waitcnt lgkmcnt(0)
	v_lshrrev_b32_e32 v5, 16, v2
	s_waitcnt vmcnt(0)
	v_mul_f16_sdwa v6, v5, v4 dst_sel:DWORD dst_unused:UNUSED_PAD src0_sel:DWORD src1_sel:WORD_1
	v_mul_f16_sdwa v7, v2, v4 dst_sel:DWORD dst_unused:UNUSED_PAD src0_sel:DWORD src1_sel:WORD_1
	v_fmac_f16_e32 v6, v2, v4
	v_fma_f16 v2, v4, v5, -v7
	v_cvt_f32_f16_e32 v4, v6
	v_cvt_f32_f16_e32 v2, v2
	v_cvt_f64_f32_e32 v[4:5], v4
	v_cvt_f64_f32_e32 v[6:7], v2
	v_mul_f64 v[4:5], v[4:5], s[4:5]
	v_mul_f64 v[6:7], v[6:7], s[4:5]
	v_and_or_b32 v2, 0x1ff, v5, v4
	v_and_or_b32 v6, 0x1ff, v7, v6
	v_lshrrev_b32_e32 v4, 8, v5
	v_bfe_u32 v8, v5, 20, 11
	v_lshrrev_b32_e32 v9, 8, v7
	v_cmp_ne_u32_e32 vcc_lo, 0, v2
	v_bfe_u32 v10, v7, 20, 11
	v_lshrrev_b32_e32 v5, 16, v5
	v_sub_nc_u32_e32 v11, 0x3f1, v8
	v_add_nc_u32_e32 v8, 0xfffffc10, v8
	v_cndmask_b32_e64 v2, 0, 1, vcc_lo
	v_cmp_ne_u32_e32 vcc_lo, 0, v6
	v_lshrrev_b32_e32 v7, 16, v7
	v_and_or_b32 v2, 0xffe, v4, v2
	v_cndmask_b32_e64 v6, 0, 1, vcc_lo
	v_sub_nc_u32_e32 v4, 0x3f1, v10
	v_add_nc_u32_e32 v10, 0xfffffc10, v10
	v_and_or_b32 v6, 0xffe, v9, v6
	v_med3_i32 v9, v11, 0, 13
	v_or_b32_e32 v11, 0x1000, v2
	v_med3_i32 v4, v4, 0, 13
	v_or_b32_e32 v12, 0x1000, v6
	v_lshrrev_b32_e32 v13, v9, v11
	v_lshrrev_b32_e32 v14, v4, v12
	v_lshlrev_b32_e32 v9, v9, v13
	v_lshlrev_b32_e32 v4, v4, v14
	v_cmp_ne_u32_e32 vcc_lo, v9, v11
	v_lshl_or_b32 v11, v8, 12, v2
	v_cndmask_b32_e64 v9, 0, 1, vcc_lo
	v_cmp_ne_u32_e32 vcc_lo, v4, v12
	v_lshl_or_b32 v12, v10, 12, v6
	v_or_b32_e32 v9, v13, v9
	v_cndmask_b32_e64 v4, 0, 1, vcc_lo
	v_cmp_gt_i32_e32 vcc_lo, 1, v8
	v_or_b32_e32 v4, v14, v4
	v_cndmask_b32_e32 v9, v11, v9, vcc_lo
	v_cmp_gt_i32_e32 vcc_lo, 1, v10
	v_and_b32_e32 v11, 7, v9
	v_cndmask_b32_e32 v4, v12, v4, vcc_lo
	v_cmp_ne_u32_e32 vcc_lo, 0, v2
	v_lshrrev_b32_e32 v9, 2, v9
	v_cmp_eq_u32_e64 s0, 3, v11
	v_and_b32_e32 v12, 7, v4
	v_cndmask_b32_e64 v2, 0, 1, vcc_lo
	v_cmp_ne_u32_e32 vcc_lo, 0, v6
	v_lshrrev_b32_e32 v4, 2, v4
	v_cmp_lt_i32_e64 s1, 5, v12
	v_cmp_eq_u32_e64 s2, 3, v12
	v_cndmask_b32_e64 v6, 0, 1, vcc_lo
	v_cmp_lt_i32_e32 vcc_lo, 5, v11
	v_lshl_or_b32 v2, v2, 9, 0x7c00
	v_lshl_or_b32 v6, v6, 9, 0x7c00
	s_or_b32 vcc_lo, s0, vcc_lo
	v_add_co_ci_u32_e32 v9, vcc_lo, 0, v9, vcc_lo
	s_or_b32 vcc_lo, s2, s1
	v_add_co_ci_u32_e32 v4, vcc_lo, 0, v4, vcc_lo
	v_cmp_gt_i32_e32 vcc_lo, 31, v8
	v_cndmask_b32_e32 v9, 0x7c00, v9, vcc_lo
	v_cmp_gt_i32_e32 vcc_lo, 31, v10
	v_cndmask_b32_e32 v4, 0x7c00, v4, vcc_lo
	v_cmp_eq_u32_e32 vcc_lo, 0x40f, v8
	v_cndmask_b32_e32 v2, v9, v2, vcc_lo
	v_cmp_eq_u32_e32 vcc_lo, 0x40f, v10
	v_and_or_b32 v2, 0x8000, v5, v2
	v_cndmask_b32_e32 v4, v4, v6, vcc_lo
	v_add_co_u32 v0, vcc_lo, v0, s6
	v_add_co_ci_u32_e32 v1, vcc_lo, s7, v1, vcc_lo
	v_and_or_b32 v4, 0x8000, v7, v4
	v_and_b32_e32 v2, 0xffff, v2
	v_lshl_or_b32 v2, v4, 16, v2
	v_lshrrev_b32_e32 v4, 16, v3
	global_store_dword v[0:1], v2, off
	global_load_dword v2, v[18:19], off offset:1720
	s_waitcnt vmcnt(0)
	v_mul_f16_sdwa v5, v4, v2 dst_sel:DWORD dst_unused:UNUSED_PAD src0_sel:DWORD src1_sel:WORD_1
	v_mul_f16_sdwa v6, v3, v2 dst_sel:DWORD dst_unused:UNUSED_PAD src0_sel:DWORD src1_sel:WORD_1
	v_fmac_f16_e32 v5, v3, v2
	v_fma_f16 v2, v2, v4, -v6
	v_cvt_f32_f16_e32 v3, v5
	v_cvt_f32_f16_e32 v4, v2
	v_cvt_f64_f32_e32 v[2:3], v3
	v_cvt_f64_f32_e32 v[4:5], v4
	v_mul_f64 v[2:3], v[2:3], s[4:5]
	v_mul_f64 v[4:5], v[4:5], s[4:5]
	v_and_or_b32 v2, 0x1ff, v3, v2
	v_and_or_b32 v4, 0x1ff, v5, v4
	v_lshrrev_b32_e32 v6, 8, v3
	v_bfe_u32 v7, v3, 20, 11
	v_lshrrev_b32_e32 v8, 8, v5
	v_cmp_ne_u32_e32 vcc_lo, 0, v2
	v_bfe_u32 v9, v5, 20, 11
	v_lshrrev_b32_e32 v3, 16, v3
	v_sub_nc_u32_e32 v10, 0x3f1, v7
	v_add_nc_u32_e32 v7, 0xfffffc10, v7
	v_cndmask_b32_e64 v2, 0, 1, vcc_lo
	v_cmp_ne_u32_e32 vcc_lo, 0, v4
	v_lshrrev_b32_e32 v5, 16, v5
	v_and_or_b32 v2, 0xffe, v6, v2
	v_cndmask_b32_e64 v4, 0, 1, vcc_lo
	v_sub_nc_u32_e32 v6, 0x3f1, v9
	v_add_nc_u32_e32 v9, 0xfffffc10, v9
	v_and_or_b32 v4, 0xffe, v8, v4
	v_med3_i32 v8, v10, 0, 13
	v_or_b32_e32 v10, 0x1000, v2
	v_med3_i32 v6, v6, 0, 13
	v_or_b32_e32 v11, 0x1000, v4
	v_lshrrev_b32_e32 v12, v8, v10
	v_lshrrev_b32_e32 v13, v6, v11
	v_lshlrev_b32_e32 v8, v8, v12
	v_lshlrev_b32_e32 v6, v6, v13
	v_cmp_ne_u32_e32 vcc_lo, v8, v10
	v_lshl_or_b32 v10, v7, 12, v2
	v_cndmask_b32_e64 v8, 0, 1, vcc_lo
	v_cmp_ne_u32_e32 vcc_lo, v6, v11
	v_lshl_or_b32 v11, v9, 12, v4
	v_or_b32_e32 v8, v12, v8
	v_cndmask_b32_e64 v6, 0, 1, vcc_lo
	v_cmp_gt_i32_e32 vcc_lo, 1, v7
	v_or_b32_e32 v6, v13, v6
	v_cndmask_b32_e32 v8, v10, v8, vcc_lo
	v_cmp_gt_i32_e32 vcc_lo, 1, v9
	v_and_b32_e32 v10, 7, v8
	v_cndmask_b32_e32 v6, v11, v6, vcc_lo
	v_cmp_ne_u32_e32 vcc_lo, 0, v2
	v_lshrrev_b32_e32 v8, 2, v8
	v_cmp_eq_u32_e64 s0, 3, v10
	v_and_b32_e32 v11, 7, v6
	v_cndmask_b32_e64 v2, 0, 1, vcc_lo
	v_cmp_ne_u32_e32 vcc_lo, 0, v4
	v_lshrrev_b32_e32 v6, 2, v6
	v_cmp_lt_i32_e64 s1, 5, v11
	v_cmp_eq_u32_e64 s2, 3, v11
	v_cndmask_b32_e64 v4, 0, 1, vcc_lo
	v_cmp_lt_i32_e32 vcc_lo, 5, v10
	v_lshl_or_b32 v2, v2, 9, 0x7c00
	v_lshl_or_b32 v4, v4, 9, 0x7c00
	s_or_b32 vcc_lo, s0, vcc_lo
	v_add_co_ci_u32_e32 v8, vcc_lo, 0, v8, vcc_lo
	s_or_b32 vcc_lo, s2, s1
	v_add_co_ci_u32_e32 v6, vcc_lo, 0, v6, vcc_lo
	v_cmp_gt_i32_e32 vcc_lo, 31, v7
	v_cndmask_b32_e32 v8, 0x7c00, v8, vcc_lo
	v_cmp_gt_i32_e32 vcc_lo, 31, v9
	v_cndmask_b32_e32 v6, 0x7c00, v6, vcc_lo
	v_cmp_eq_u32_e32 vcc_lo, 0x40f, v7
	v_cndmask_b32_e32 v2, v8, v2, vcc_lo
	v_cmp_eq_u32_e32 vcc_lo, 0x40f, v9
	v_and_or_b32 v2, 0x8000, v3, v2
	v_cndmask_b32_e32 v4, v6, v4, vcc_lo
	v_add_co_u32 v0, vcc_lo, v0, s6
	v_add_co_ci_u32_e32 v1, vcc_lo, s7, v1, vcc_lo
	v_and_or_b32 v3, 0x8000, v5, v4
	v_and_b32_e32 v2, 0xffff, v2
	v_lshl_or_b32 v2, v3, 16, v2
	global_store_dword v[0:1], v2, off
	global_load_dword v4, v[18:19], off offset:2044
	ds_read2_b32 v[2:3], v28 offset0:127 offset1:208
	s_waitcnt lgkmcnt(0)
	v_lshrrev_b32_e32 v5, 16, v2
	s_waitcnt vmcnt(0)
	v_mul_f16_sdwa v6, v5, v4 dst_sel:DWORD dst_unused:UNUSED_PAD src0_sel:DWORD src1_sel:WORD_1
	v_mul_f16_sdwa v7, v2, v4 dst_sel:DWORD dst_unused:UNUSED_PAD src0_sel:DWORD src1_sel:WORD_1
	v_fmac_f16_e32 v6, v2, v4
	v_fma_f16 v2, v4, v5, -v7
	v_cvt_f32_f16_e32 v4, v6
	v_cvt_f32_f16_e32 v2, v2
	v_cvt_f64_f32_e32 v[4:5], v4
	v_cvt_f64_f32_e32 v[6:7], v2
	v_mul_f64 v[4:5], v[4:5], s[4:5]
	v_mul_f64 v[6:7], v[6:7], s[4:5]
	v_and_or_b32 v2, 0x1ff, v5, v4
	v_and_or_b32 v6, 0x1ff, v7, v6
	v_lshrrev_b32_e32 v4, 8, v5
	v_bfe_u32 v8, v5, 20, 11
	v_lshrrev_b32_e32 v9, 8, v7
	v_cmp_ne_u32_e32 vcc_lo, 0, v2
	v_bfe_u32 v10, v7, 20, 11
	v_lshrrev_b32_e32 v5, 16, v5
	v_sub_nc_u32_e32 v11, 0x3f1, v8
	v_add_nc_u32_e32 v8, 0xfffffc10, v8
	v_cndmask_b32_e64 v2, 0, 1, vcc_lo
	v_cmp_ne_u32_e32 vcc_lo, 0, v6
	v_lshrrev_b32_e32 v7, 16, v7
	v_and_or_b32 v2, 0xffe, v4, v2
	v_cndmask_b32_e64 v6, 0, 1, vcc_lo
	v_sub_nc_u32_e32 v4, 0x3f1, v10
	v_add_nc_u32_e32 v10, 0xfffffc10, v10
	v_and_or_b32 v6, 0xffe, v9, v6
	v_med3_i32 v9, v11, 0, 13
	v_or_b32_e32 v11, 0x1000, v2
	v_med3_i32 v4, v4, 0, 13
	v_or_b32_e32 v12, 0x1000, v6
	v_lshrrev_b32_e32 v13, v9, v11
	v_lshrrev_b32_e32 v14, v4, v12
	v_lshlrev_b32_e32 v9, v9, v13
	v_lshlrev_b32_e32 v4, v4, v14
	v_cmp_ne_u32_e32 vcc_lo, v9, v11
	v_lshl_or_b32 v11, v8, 12, v2
	v_cndmask_b32_e64 v9, 0, 1, vcc_lo
	v_cmp_ne_u32_e32 vcc_lo, v4, v12
	v_lshl_or_b32 v12, v10, 12, v6
	v_or_b32_e32 v9, v13, v9
	v_cndmask_b32_e64 v4, 0, 1, vcc_lo
	v_cmp_gt_i32_e32 vcc_lo, 1, v8
	v_or_b32_e32 v4, v14, v4
	v_cndmask_b32_e32 v9, v11, v9, vcc_lo
	v_cmp_gt_i32_e32 vcc_lo, 1, v10
	v_and_b32_e32 v11, 7, v9
	v_cndmask_b32_e32 v4, v12, v4, vcc_lo
	v_cmp_ne_u32_e32 vcc_lo, 0, v2
	v_lshrrev_b32_e32 v9, 2, v9
	v_cmp_eq_u32_e64 s0, 3, v11
	v_and_b32_e32 v12, 7, v4
	v_cndmask_b32_e64 v2, 0, 1, vcc_lo
	v_cmp_ne_u32_e32 vcc_lo, 0, v6
	v_lshrrev_b32_e32 v4, 2, v4
	v_cmp_lt_i32_e64 s1, 5, v12
	v_cmp_eq_u32_e64 s2, 3, v12
	v_cndmask_b32_e64 v6, 0, 1, vcc_lo
	v_cmp_lt_i32_e32 vcc_lo, 5, v11
	v_lshl_or_b32 v2, v2, 9, 0x7c00
	v_lshl_or_b32 v6, v6, 9, 0x7c00
	s_or_b32 vcc_lo, s0, vcc_lo
	v_add_co_ci_u32_e32 v9, vcc_lo, 0, v9, vcc_lo
	s_or_b32 vcc_lo, s2, s1
	v_add_co_ci_u32_e32 v4, vcc_lo, 0, v4, vcc_lo
	v_cmp_gt_i32_e32 vcc_lo, 31, v8
	v_cndmask_b32_e32 v9, 0x7c00, v9, vcc_lo
	v_cmp_gt_i32_e32 vcc_lo, 31, v10
	v_cndmask_b32_e32 v4, 0x7c00, v4, vcc_lo
	v_cmp_eq_u32_e32 vcc_lo, 0x40f, v8
	v_cndmask_b32_e32 v2, v9, v2, vcc_lo
	v_cmp_eq_u32_e32 vcc_lo, 0x40f, v10
	v_and_or_b32 v2, 0x8000, v5, v2
	v_cndmask_b32_e32 v4, v4, v6, vcc_lo
	v_add_co_u32 v0, vcc_lo, v0, s6
	v_add_co_ci_u32_e32 v1, vcc_lo, s7, v1, vcc_lo
	v_and_or_b32 v4, 0x8000, v7, v4
	v_and_b32_e32 v2, 0xffff, v2
	v_lshl_or_b32 v2, v4, 16, v2
	v_lshrrev_b32_e32 v4, 16, v3
	global_store_dword v[0:1], v2, off
	global_load_dword v2, v[16:17], off offset:320
	s_waitcnt vmcnt(0)
	v_mul_f16_sdwa v5, v4, v2 dst_sel:DWORD dst_unused:UNUSED_PAD src0_sel:DWORD src1_sel:WORD_1
	v_mul_f16_sdwa v6, v3, v2 dst_sel:DWORD dst_unused:UNUSED_PAD src0_sel:DWORD src1_sel:WORD_1
	v_fmac_f16_e32 v5, v3, v2
	v_fma_f16 v2, v2, v4, -v6
	v_cvt_f32_f16_e32 v3, v5
	v_cvt_f32_f16_e32 v4, v2
	v_cvt_f64_f32_e32 v[2:3], v3
	v_cvt_f64_f32_e32 v[4:5], v4
	v_mul_f64 v[2:3], v[2:3], s[4:5]
	v_mul_f64 v[4:5], v[4:5], s[4:5]
	v_and_or_b32 v2, 0x1ff, v3, v2
	v_and_or_b32 v4, 0x1ff, v5, v4
	v_lshrrev_b32_e32 v6, 8, v3
	v_bfe_u32 v7, v3, 20, 11
	v_lshrrev_b32_e32 v8, 8, v5
	v_cmp_ne_u32_e32 vcc_lo, 0, v2
	v_bfe_u32 v9, v5, 20, 11
	v_lshrrev_b32_e32 v3, 16, v3
	v_sub_nc_u32_e32 v10, 0x3f1, v7
	v_add_nc_u32_e32 v7, 0xfffffc10, v7
	v_cndmask_b32_e64 v2, 0, 1, vcc_lo
	v_cmp_ne_u32_e32 vcc_lo, 0, v4
	v_lshrrev_b32_e32 v5, 16, v5
	v_and_or_b32 v2, 0xffe, v6, v2
	v_cndmask_b32_e64 v4, 0, 1, vcc_lo
	v_sub_nc_u32_e32 v6, 0x3f1, v9
	v_add_nc_u32_e32 v9, 0xfffffc10, v9
	v_and_or_b32 v4, 0xffe, v8, v4
	v_med3_i32 v8, v10, 0, 13
	v_or_b32_e32 v10, 0x1000, v2
	v_med3_i32 v6, v6, 0, 13
	v_or_b32_e32 v11, 0x1000, v4
	v_lshrrev_b32_e32 v12, v8, v10
	v_lshrrev_b32_e32 v13, v6, v11
	v_lshlrev_b32_e32 v8, v8, v12
	v_lshlrev_b32_e32 v6, v6, v13
	v_cmp_ne_u32_e32 vcc_lo, v8, v10
	v_lshl_or_b32 v10, v7, 12, v2
	v_cndmask_b32_e64 v8, 0, 1, vcc_lo
	v_cmp_ne_u32_e32 vcc_lo, v6, v11
	v_lshl_or_b32 v11, v9, 12, v4
	v_or_b32_e32 v8, v12, v8
	v_cndmask_b32_e64 v6, 0, 1, vcc_lo
	v_cmp_gt_i32_e32 vcc_lo, 1, v7
	v_or_b32_e32 v6, v13, v6
	v_cndmask_b32_e32 v8, v10, v8, vcc_lo
	v_cmp_gt_i32_e32 vcc_lo, 1, v9
	v_and_b32_e32 v10, 7, v8
	v_cndmask_b32_e32 v6, v11, v6, vcc_lo
	v_cmp_ne_u32_e32 vcc_lo, 0, v2
	v_lshrrev_b32_e32 v8, 2, v8
	v_cmp_eq_u32_e64 s0, 3, v10
	v_and_b32_e32 v11, 7, v6
	v_cndmask_b32_e64 v2, 0, 1, vcc_lo
	v_cmp_ne_u32_e32 vcc_lo, 0, v4
	v_lshrrev_b32_e32 v6, 2, v6
	v_cmp_lt_i32_e64 s1, 5, v11
	v_cmp_eq_u32_e64 s2, 3, v11
	v_cndmask_b32_e64 v4, 0, 1, vcc_lo
	v_cmp_lt_i32_e32 vcc_lo, 5, v10
	v_lshl_or_b32 v2, v2, 9, 0x7c00
	v_lshl_or_b32 v4, v4, 9, 0x7c00
	s_or_b32 vcc_lo, s0, vcc_lo
	v_add_co_ci_u32_e32 v8, vcc_lo, 0, v8, vcc_lo
	s_or_b32 vcc_lo, s2, s1
	v_add_co_ci_u32_e32 v6, vcc_lo, 0, v6, vcc_lo
	v_cmp_gt_i32_e32 vcc_lo, 31, v7
	v_cndmask_b32_e32 v8, 0x7c00, v8, vcc_lo
	v_cmp_gt_i32_e32 vcc_lo, 31, v9
	v_cndmask_b32_e32 v6, 0x7c00, v6, vcc_lo
	v_cmp_eq_u32_e32 vcc_lo, 0x40f, v7
	v_cndmask_b32_e32 v2, v8, v2, vcc_lo
	v_cmp_eq_u32_e32 vcc_lo, 0x40f, v9
	v_and_or_b32 v2, 0x8000, v3, v2
	v_cndmask_b32_e32 v4, v6, v4, vcc_lo
	v_add_co_u32 v0, vcc_lo, v0, s6
	v_add_co_ci_u32_e32 v1, vcc_lo, s7, v1, vcc_lo
	v_and_or_b32 v3, 0x8000, v5, v4
	v_and_b32_e32 v2, 0xffff, v2
	v_lshl_or_b32 v2, v3, 16, v2
	global_store_dword v[0:1], v2, off
	global_load_dword v4, v[16:17], off offset:644
	ds_read2_b32 v[2:3], v27 offset0:161 offset1:242
	s_waitcnt lgkmcnt(0)
	v_lshrrev_b32_e32 v5, 16, v2
	s_waitcnt vmcnt(0)
	v_mul_f16_sdwa v6, v5, v4 dst_sel:DWORD dst_unused:UNUSED_PAD src0_sel:DWORD src1_sel:WORD_1
	v_mul_f16_sdwa v7, v2, v4 dst_sel:DWORD dst_unused:UNUSED_PAD src0_sel:DWORD src1_sel:WORD_1
	v_fmac_f16_e32 v6, v2, v4
	v_fma_f16 v2, v4, v5, -v7
	v_cvt_f32_f16_e32 v4, v6
	v_cvt_f32_f16_e32 v2, v2
	v_cvt_f64_f32_e32 v[4:5], v4
	v_cvt_f64_f32_e32 v[6:7], v2
	v_mul_f64 v[4:5], v[4:5], s[4:5]
	v_mul_f64 v[6:7], v[6:7], s[4:5]
	v_and_or_b32 v2, 0x1ff, v5, v4
	v_and_or_b32 v6, 0x1ff, v7, v6
	v_lshrrev_b32_e32 v4, 8, v5
	v_bfe_u32 v8, v5, 20, 11
	v_lshrrev_b32_e32 v9, 8, v7
	v_cmp_ne_u32_e32 vcc_lo, 0, v2
	v_bfe_u32 v10, v7, 20, 11
	v_lshrrev_b32_e32 v5, 16, v5
	v_sub_nc_u32_e32 v11, 0x3f1, v8
	v_add_nc_u32_e32 v8, 0xfffffc10, v8
	v_cndmask_b32_e64 v2, 0, 1, vcc_lo
	v_cmp_ne_u32_e32 vcc_lo, 0, v6
	v_lshrrev_b32_e32 v7, 16, v7
	v_and_or_b32 v2, 0xffe, v4, v2
	v_cndmask_b32_e64 v6, 0, 1, vcc_lo
	v_sub_nc_u32_e32 v4, 0x3f1, v10
	v_add_nc_u32_e32 v10, 0xfffffc10, v10
	v_and_or_b32 v6, 0xffe, v9, v6
	v_med3_i32 v9, v11, 0, 13
	v_or_b32_e32 v11, 0x1000, v2
	v_med3_i32 v4, v4, 0, 13
	v_or_b32_e32 v12, 0x1000, v6
	v_lshrrev_b32_e32 v13, v9, v11
	v_lshrrev_b32_e32 v14, v4, v12
	v_lshlrev_b32_e32 v9, v9, v13
	v_lshlrev_b32_e32 v4, v4, v14
	v_cmp_ne_u32_e32 vcc_lo, v9, v11
	v_lshl_or_b32 v11, v8, 12, v2
	v_cndmask_b32_e64 v9, 0, 1, vcc_lo
	v_cmp_ne_u32_e32 vcc_lo, v4, v12
	v_lshl_or_b32 v12, v10, 12, v6
	v_or_b32_e32 v9, v13, v9
	v_cndmask_b32_e64 v4, 0, 1, vcc_lo
	v_cmp_gt_i32_e32 vcc_lo, 1, v8
	v_or_b32_e32 v4, v14, v4
	v_cndmask_b32_e32 v9, v11, v9, vcc_lo
	v_cmp_gt_i32_e32 vcc_lo, 1, v10
	v_and_b32_e32 v11, 7, v9
	v_cndmask_b32_e32 v4, v12, v4, vcc_lo
	v_cmp_ne_u32_e32 vcc_lo, 0, v2
	v_lshrrev_b32_e32 v9, 2, v9
	v_cmp_eq_u32_e64 s0, 3, v11
	v_and_b32_e32 v12, 7, v4
	v_cndmask_b32_e64 v2, 0, 1, vcc_lo
	v_cmp_ne_u32_e32 vcc_lo, 0, v6
	v_lshrrev_b32_e32 v4, 2, v4
	v_cmp_lt_i32_e64 s1, 5, v12
	v_cmp_eq_u32_e64 s2, 3, v12
	v_cndmask_b32_e64 v6, 0, 1, vcc_lo
	v_cmp_lt_i32_e32 vcc_lo, 5, v11
	v_lshl_or_b32 v2, v2, 9, 0x7c00
	v_lshl_or_b32 v6, v6, 9, 0x7c00
	s_or_b32 vcc_lo, s0, vcc_lo
	v_add_co_ci_u32_e32 v9, vcc_lo, 0, v9, vcc_lo
	s_or_b32 vcc_lo, s2, s1
	v_add_co_ci_u32_e32 v4, vcc_lo, 0, v4, vcc_lo
	v_cmp_gt_i32_e32 vcc_lo, 31, v8
	v_cndmask_b32_e32 v9, 0x7c00, v9, vcc_lo
	v_cmp_gt_i32_e32 vcc_lo, 31, v10
	v_cndmask_b32_e32 v4, 0x7c00, v4, vcc_lo
	v_cmp_eq_u32_e32 vcc_lo, 0x40f, v8
	v_cndmask_b32_e32 v2, v9, v2, vcc_lo
	v_cmp_eq_u32_e32 vcc_lo, 0x40f, v10
	v_and_or_b32 v2, 0x8000, v5, v2
	v_cndmask_b32_e32 v4, v4, v6, vcc_lo
	v_add_co_u32 v0, vcc_lo, v0, s6
	v_add_co_ci_u32_e32 v1, vcc_lo, s7, v1, vcc_lo
	v_and_or_b32 v4, 0x8000, v7, v4
	v_and_b32_e32 v2, 0xffff, v2
	v_lshl_or_b32 v2, v4, 16, v2
	v_lshrrev_b32_e32 v4, 16, v3
	global_store_dword v[0:1], v2, off
	global_load_dword v2, v[16:17], off offset:968
	s_waitcnt vmcnt(0)
	v_mul_f16_sdwa v5, v4, v2 dst_sel:DWORD dst_unused:UNUSED_PAD src0_sel:DWORD src1_sel:WORD_1
	v_mul_f16_sdwa v6, v3, v2 dst_sel:DWORD dst_unused:UNUSED_PAD src0_sel:DWORD src1_sel:WORD_1
	v_fmac_f16_e32 v5, v3, v2
	v_fma_f16 v2, v2, v4, -v6
	v_cvt_f32_f16_e32 v3, v5
	v_cvt_f32_f16_e32 v4, v2
	v_cvt_f64_f32_e32 v[2:3], v3
	v_cvt_f64_f32_e32 v[4:5], v4
	v_mul_f64 v[2:3], v[2:3], s[4:5]
	v_mul_f64 v[4:5], v[4:5], s[4:5]
	v_and_or_b32 v2, 0x1ff, v3, v2
	v_and_or_b32 v4, 0x1ff, v5, v4
	v_lshrrev_b32_e32 v6, 8, v3
	v_bfe_u32 v7, v3, 20, 11
	v_lshrrev_b32_e32 v8, 8, v5
	v_cmp_ne_u32_e32 vcc_lo, 0, v2
	v_bfe_u32 v9, v5, 20, 11
	v_lshrrev_b32_e32 v3, 16, v3
	v_sub_nc_u32_e32 v10, 0x3f1, v7
	v_add_nc_u32_e32 v7, 0xfffffc10, v7
	v_cndmask_b32_e64 v2, 0, 1, vcc_lo
	v_cmp_ne_u32_e32 vcc_lo, 0, v4
	v_lshrrev_b32_e32 v5, 16, v5
	v_and_or_b32 v2, 0xffe, v6, v2
	v_cndmask_b32_e64 v4, 0, 1, vcc_lo
	v_sub_nc_u32_e32 v6, 0x3f1, v9
	v_add_nc_u32_e32 v9, 0xfffffc10, v9
	v_and_or_b32 v4, 0xffe, v8, v4
	v_med3_i32 v8, v10, 0, 13
	v_or_b32_e32 v10, 0x1000, v2
	v_med3_i32 v6, v6, 0, 13
	v_or_b32_e32 v11, 0x1000, v4
	v_lshrrev_b32_e32 v12, v8, v10
	v_lshrrev_b32_e32 v13, v6, v11
	v_lshlrev_b32_e32 v8, v8, v12
	v_lshlrev_b32_e32 v6, v6, v13
	v_cmp_ne_u32_e32 vcc_lo, v8, v10
	v_lshl_or_b32 v10, v7, 12, v2
	v_cndmask_b32_e64 v8, 0, 1, vcc_lo
	v_cmp_ne_u32_e32 vcc_lo, v6, v11
	v_lshl_or_b32 v11, v9, 12, v4
	v_or_b32_e32 v8, v12, v8
	v_cndmask_b32_e64 v6, 0, 1, vcc_lo
	v_cmp_gt_i32_e32 vcc_lo, 1, v7
	v_or_b32_e32 v6, v13, v6
	v_cndmask_b32_e32 v8, v10, v8, vcc_lo
	v_cmp_gt_i32_e32 vcc_lo, 1, v9
	v_and_b32_e32 v10, 7, v8
	v_cndmask_b32_e32 v6, v11, v6, vcc_lo
	v_cmp_ne_u32_e32 vcc_lo, 0, v2
	v_lshrrev_b32_e32 v8, 2, v8
	v_cmp_eq_u32_e64 s0, 3, v10
	v_and_b32_e32 v11, 7, v6
	v_cndmask_b32_e64 v2, 0, 1, vcc_lo
	v_cmp_ne_u32_e32 vcc_lo, 0, v4
	v_lshrrev_b32_e32 v6, 2, v6
	v_cmp_lt_i32_e64 s1, 5, v11
	v_cmp_eq_u32_e64 s2, 3, v11
	v_cndmask_b32_e64 v4, 0, 1, vcc_lo
	v_cmp_lt_i32_e32 vcc_lo, 5, v10
	v_lshl_or_b32 v2, v2, 9, 0x7c00
	v_lshl_or_b32 v4, v4, 9, 0x7c00
	s_or_b32 vcc_lo, s0, vcc_lo
	v_add_co_ci_u32_e32 v8, vcc_lo, 0, v8, vcc_lo
	s_or_b32 vcc_lo, s2, s1
	v_add_co_ci_u32_e32 v6, vcc_lo, 0, v6, vcc_lo
	v_cmp_gt_i32_e32 vcc_lo, 31, v7
	v_cndmask_b32_e32 v8, 0x7c00, v8, vcc_lo
	v_cmp_gt_i32_e32 vcc_lo, 31, v9
	v_cndmask_b32_e32 v6, 0x7c00, v6, vcc_lo
	v_cmp_eq_u32_e32 vcc_lo, 0x40f, v7
	v_cndmask_b32_e32 v2, v8, v2, vcc_lo
	v_cmp_eq_u32_e32 vcc_lo, 0x40f, v9
	v_and_or_b32 v2, 0x8000, v3, v2
	v_cndmask_b32_e32 v4, v6, v4, vcc_lo
	v_add_co_u32 v0, vcc_lo, v0, s6
	v_add_co_ci_u32_e32 v1, vcc_lo, s7, v1, vcc_lo
	v_and_or_b32 v3, 0x8000, v5, v4
	v_and_b32_e32 v2, 0xffff, v2
	v_lshl_or_b32 v2, v3, 16, v2
	ds_read_b32 v3, v93 offset:5388
	global_store_dword v[0:1], v2, off
	global_load_dword v2, v[16:17], off offset:1292
	s_waitcnt lgkmcnt(0)
	v_lshrrev_b32_e32 v4, 16, v3
	s_waitcnt vmcnt(0)
	v_mul_f16_sdwa v5, v4, v2 dst_sel:DWORD dst_unused:UNUSED_PAD src0_sel:DWORD src1_sel:WORD_1
	v_mul_f16_sdwa v6, v3, v2 dst_sel:DWORD dst_unused:UNUSED_PAD src0_sel:DWORD src1_sel:WORD_1
	v_fmac_f16_e32 v5, v3, v2
	v_fma_f16 v2, v2, v4, -v6
	v_cvt_f32_f16_e32 v3, v5
	v_cvt_f32_f16_e32 v4, v2
	v_cvt_f64_f32_e32 v[2:3], v3
	v_cvt_f64_f32_e32 v[4:5], v4
	v_mul_f64 v[2:3], v[2:3], s[4:5]
	v_mul_f64 v[4:5], v[4:5], s[4:5]
	v_and_or_b32 v2, 0x1ff, v3, v2
	v_and_or_b32 v4, 0x1ff, v5, v4
	v_lshrrev_b32_e32 v6, 8, v3
	v_bfe_u32 v7, v3, 20, 11
	v_lshrrev_b32_e32 v8, 8, v5
	v_cmp_ne_u32_e32 vcc_lo, 0, v2
	v_bfe_u32 v9, v5, 20, 11
	v_lshrrev_b32_e32 v3, 16, v3
	v_sub_nc_u32_e32 v10, 0x3f1, v7
	v_add_nc_u32_e32 v7, 0xfffffc10, v7
	v_cndmask_b32_e64 v2, 0, 1, vcc_lo
	v_cmp_ne_u32_e32 vcc_lo, 0, v4
	v_lshrrev_b32_e32 v5, 16, v5
	v_and_or_b32 v2, 0xffe, v6, v2
	v_cndmask_b32_e64 v4, 0, 1, vcc_lo
	v_sub_nc_u32_e32 v6, 0x3f1, v9
	v_add_nc_u32_e32 v9, 0xfffffc10, v9
	v_and_or_b32 v4, 0xffe, v8, v4
	v_med3_i32 v8, v10, 0, 13
	v_or_b32_e32 v10, 0x1000, v2
	v_med3_i32 v6, v6, 0, 13
	v_or_b32_e32 v11, 0x1000, v4
	v_lshrrev_b32_e32 v12, v8, v10
	v_lshrrev_b32_e32 v13, v6, v11
	v_lshlrev_b32_e32 v8, v8, v12
	v_lshlrev_b32_e32 v6, v6, v13
	v_cmp_ne_u32_e32 vcc_lo, v8, v10
	v_lshl_or_b32 v10, v7, 12, v2
	v_cndmask_b32_e64 v8, 0, 1, vcc_lo
	v_cmp_ne_u32_e32 vcc_lo, v6, v11
	v_lshl_or_b32 v11, v9, 12, v4
	v_or_b32_e32 v8, v12, v8
	v_cndmask_b32_e64 v6, 0, 1, vcc_lo
	v_cmp_gt_i32_e32 vcc_lo, 1, v7
	v_or_b32_e32 v6, v13, v6
	v_cndmask_b32_e32 v8, v10, v8, vcc_lo
	v_cmp_gt_i32_e32 vcc_lo, 1, v9
	v_and_b32_e32 v10, 7, v8
	v_cndmask_b32_e32 v6, v11, v6, vcc_lo
	v_cmp_ne_u32_e32 vcc_lo, 0, v2
	v_lshrrev_b32_e32 v8, 2, v8
	v_cmp_eq_u32_e64 s0, 3, v10
	v_and_b32_e32 v11, 7, v6
	v_cndmask_b32_e64 v2, 0, 1, vcc_lo
	v_cmp_ne_u32_e32 vcc_lo, 0, v4
	v_lshrrev_b32_e32 v6, 2, v6
	v_cmp_lt_i32_e64 s1, 5, v11
	v_cmp_eq_u32_e64 s2, 3, v11
	v_cndmask_b32_e64 v4, 0, 1, vcc_lo
	v_cmp_lt_i32_e32 vcc_lo, 5, v10
	v_lshl_or_b32 v2, v2, 9, 0x7c00
	v_lshl_or_b32 v4, v4, 9, 0x7c00
	s_or_b32 vcc_lo, s0, vcc_lo
	v_add_co_ci_u32_e32 v8, vcc_lo, 0, v8, vcc_lo
	s_or_b32 vcc_lo, s2, s1
	v_add_co_ci_u32_e32 v6, vcc_lo, 0, v6, vcc_lo
	v_cmp_gt_i32_e32 vcc_lo, 31, v7
	v_cndmask_b32_e32 v8, 0x7c00, v8, vcc_lo
	v_cmp_gt_i32_e32 vcc_lo, 31, v9
	v_cndmask_b32_e32 v6, 0x7c00, v6, vcc_lo
	v_cmp_eq_u32_e32 vcc_lo, 0x40f, v7
	v_cndmask_b32_e32 v2, v8, v2, vcc_lo
	v_cmp_eq_u32_e32 vcc_lo, 0x40f, v9
	v_and_or_b32 v2, 0x8000, v3, v2
	v_cndmask_b32_e32 v4, v6, v4, vcc_lo
	v_add_co_u32 v0, vcc_lo, v0, s6
	v_add_co_ci_u32_e32 v1, vcc_lo, s7, v1, vcc_lo
	v_and_or_b32 v3, 0x8000, v5, v4
	v_and_b32_e32 v2, 0xffff, v2
	v_lshl_or_b32 v2, v3, 16, v2
	global_store_dword v[0:1], v2, off
.LBB0_15:
	s_endpgm
	.section	.rodata,"a",@progbits
	.p2align	6, 0x0
	.amdhsa_kernel bluestein_single_fwd_len1377_dim1_half_op_CI_CI
		.amdhsa_group_segment_fixed_size 5508
		.amdhsa_private_segment_fixed_size 0
		.amdhsa_kernarg_size 104
		.amdhsa_user_sgpr_count 6
		.amdhsa_user_sgpr_private_segment_buffer 1
		.amdhsa_user_sgpr_dispatch_ptr 0
		.amdhsa_user_sgpr_queue_ptr 0
		.amdhsa_user_sgpr_kernarg_segment_ptr 1
		.amdhsa_user_sgpr_dispatch_id 0
		.amdhsa_user_sgpr_flat_scratch_init 0
		.amdhsa_user_sgpr_private_segment_size 0
		.amdhsa_wavefront_size32 1
		.amdhsa_uses_dynamic_stack 0
		.amdhsa_system_sgpr_private_segment_wavefront_offset 0
		.amdhsa_system_sgpr_workgroup_id_x 1
		.amdhsa_system_sgpr_workgroup_id_y 0
		.amdhsa_system_sgpr_workgroup_id_z 0
		.amdhsa_system_sgpr_workgroup_info 0
		.amdhsa_system_vgpr_workitem_id 0
		.amdhsa_next_free_vgpr 253
		.amdhsa_next_free_sgpr 16
		.amdhsa_reserve_vcc 1
		.amdhsa_reserve_flat_scratch 0
		.amdhsa_float_round_mode_32 0
		.amdhsa_float_round_mode_16_64 0
		.amdhsa_float_denorm_mode_32 3
		.amdhsa_float_denorm_mode_16_64 3
		.amdhsa_dx10_clamp 1
		.amdhsa_ieee_mode 1
		.amdhsa_fp16_overflow 0
		.amdhsa_workgroup_processor_mode 1
		.amdhsa_memory_ordered 1
		.amdhsa_forward_progress 0
		.amdhsa_shared_vgpr_count 0
		.amdhsa_exception_fp_ieee_invalid_op 0
		.amdhsa_exception_fp_denorm_src 0
		.amdhsa_exception_fp_ieee_div_zero 0
		.amdhsa_exception_fp_ieee_overflow 0
		.amdhsa_exception_fp_ieee_underflow 0
		.amdhsa_exception_fp_ieee_inexact 0
		.amdhsa_exception_int_div_zero 0
	.end_amdhsa_kernel
	.text
.Lfunc_end0:
	.size	bluestein_single_fwd_len1377_dim1_half_op_CI_CI, .Lfunc_end0-bluestein_single_fwd_len1377_dim1_half_op_CI_CI
                                        ; -- End function
	.section	.AMDGPU.csdata,"",@progbits
; Kernel info:
; codeLenInByte = 61292
; NumSgprs: 18
; NumVgprs: 253
; ScratchSize: 0
; MemoryBound: 0
; FloatMode: 240
; IeeeMode: 1
; LDSByteSize: 5508 bytes/workgroup (compile time only)
; SGPRBlocks: 2
; VGPRBlocks: 31
; NumSGPRsForWavesPerEU: 18
; NumVGPRsForWavesPerEU: 253
; Occupancy: 4
; WaveLimiterHint : 1
; COMPUTE_PGM_RSRC2:SCRATCH_EN: 0
; COMPUTE_PGM_RSRC2:USER_SGPR: 6
; COMPUTE_PGM_RSRC2:TRAP_HANDLER: 0
; COMPUTE_PGM_RSRC2:TGID_X_EN: 1
; COMPUTE_PGM_RSRC2:TGID_Y_EN: 0
; COMPUTE_PGM_RSRC2:TGID_Z_EN: 0
; COMPUTE_PGM_RSRC2:TIDIG_COMP_CNT: 0
	.text
	.p2alignl 6, 3214868480
	.fill 48, 4, 3214868480
	.type	__hip_cuid_3b2d28555bbdc1de,@object ; @__hip_cuid_3b2d28555bbdc1de
	.section	.bss,"aw",@nobits
	.globl	__hip_cuid_3b2d28555bbdc1de
__hip_cuid_3b2d28555bbdc1de:
	.byte	0                               ; 0x0
	.size	__hip_cuid_3b2d28555bbdc1de, 1

	.ident	"AMD clang version 19.0.0git (https://github.com/RadeonOpenCompute/llvm-project roc-6.4.0 25133 c7fe45cf4b819c5991fe208aaa96edf142730f1d)"
	.section	".note.GNU-stack","",@progbits
	.addrsig
	.addrsig_sym __hip_cuid_3b2d28555bbdc1de
	.amdgpu_metadata
---
amdhsa.kernels:
  - .args:
      - .actual_access:  read_only
        .address_space:  global
        .offset:         0
        .size:           8
        .value_kind:     global_buffer
      - .actual_access:  read_only
        .address_space:  global
        .offset:         8
        .size:           8
        .value_kind:     global_buffer
      - .actual_access:  read_only
        .address_space:  global
        .offset:         16
        .size:           8
        .value_kind:     global_buffer
      - .actual_access:  read_only
        .address_space:  global
        .offset:         24
        .size:           8
        .value_kind:     global_buffer
      - .actual_access:  read_only
        .address_space:  global
        .offset:         32
        .size:           8
        .value_kind:     global_buffer
      - .offset:         40
        .size:           8
        .value_kind:     by_value
      - .address_space:  global
        .offset:         48
        .size:           8
        .value_kind:     global_buffer
      - .address_space:  global
        .offset:         56
        .size:           8
        .value_kind:     global_buffer
      - .address_space:  global
        .offset:         64
        .size:           8
        .value_kind:     global_buffer
      - .address_space:  global
        .offset:         72
        .size:           8
        .value_kind:     global_buffer
      - .offset:         80
        .size:           4
        .value_kind:     by_value
      - .address_space:  global
        .offset:         88
        .size:           8
        .value_kind:     global_buffer
      - .address_space:  global
        .offset:         96
        .size:           8
        .value_kind:     global_buffer
    .group_segment_fixed_size: 5508
    .kernarg_segment_align: 8
    .kernarg_segment_size: 104
    .language:       OpenCL C
    .language_version:
      - 2
      - 0
    .max_flat_workgroup_size: 51
    .name:           bluestein_single_fwd_len1377_dim1_half_op_CI_CI
    .private_segment_fixed_size: 0
    .sgpr_count:     18
    .sgpr_spill_count: 0
    .symbol:         bluestein_single_fwd_len1377_dim1_half_op_CI_CI.kd
    .uniform_work_group_size: 1
    .uses_dynamic_stack: false
    .vgpr_count:     253
    .vgpr_spill_count: 0
    .wavefront_size: 32
    .workgroup_processor_mode: 1
amdhsa.target:   amdgcn-amd-amdhsa--gfx1030
amdhsa.version:
  - 1
  - 2
...

	.end_amdgpu_metadata
